;; amdgpu-corpus repo=ROCm/rocFFT kind=compiled arch=gfx906 opt=O3
	.text
	.amdgcn_target "amdgcn-amd-amdhsa--gfx906"
	.amdhsa_code_object_version 6
	.protected	bluestein_single_fwd_len2023_dim1_dp_op_CI_CI ; -- Begin function bluestein_single_fwd_len2023_dim1_dp_op_CI_CI
	.globl	bluestein_single_fwd_len2023_dim1_dp_op_CI_CI
	.p2align	8
	.type	bluestein_single_fwd_len2023_dim1_dp_op_CI_CI,@function
bluestein_single_fwd_len2023_dim1_dp_op_CI_CI: ; @bluestein_single_fwd_len2023_dim1_dp_op_CI_CI
; %bb.0:
	s_mov_b64 s[62:63], s[2:3]
	s_mov_b64 s[60:61], s[0:1]
	s_load_dwordx4 s[0:3], s[4:5], 0x28
	v_mul_u32_u24_e32 v1, 0x227, v0
	v_add_u32_sdwa v4, s6, v1 dst_sel:DWORD dst_unused:UNUSED_PAD src0_sel:DWORD src1_sel:WORD_1
	v_mov_b32_e32 v5, 0
	s_add_u32 s60, s60, s7
	s_waitcnt lgkmcnt(0)
	v_cmp_gt_u64_e32 vcc, s[0:1], v[4:5]
	s_addc_u32 s61, s61, 0
	s_and_saveexec_b64 s[0:1], vcc
	s_cbranch_execz .LBB0_10
; %bb.1:
	s_load_dwordx4 s[8:11], s[4:5], 0x18
	s_load_dwordx4 s[12:15], s[4:5], 0x0
	s_movk_i32 s0, 0x77
	v_mul_lo_u16_sdwa v1, v1, s0 dst_sel:DWORD dst_unused:UNUSED_PAD src0_sel:WORD_1 src1_sel:DWORD
	v_sub_u16_e32 v180, v0, v1
	s_waitcnt lgkmcnt(0)
	s_load_dwordx4 s[16:19], s[8:9], 0x0
	v_mov_b32_e32 v5, v4
	buffer_store_dword v5, off, s[60:63], 0 offset:64 ; 4-byte Folded Spill
	s_nop 0
	buffer_store_dword v6, off, s[60:63], 0 offset:68 ; 4-byte Folded Spill
	v_lshlrev_b32_e32 v212, 4, v180
	s_movk_i32 s6, 0x3000
	s_waitcnt lgkmcnt(0)
	v_mad_u64_u32 v[0:1], s[0:1], s18, v4, 0
	v_mad_u64_u32 v[2:3], s[0:1], s16, v180, 0
	s_mov_b32 s28, 0x5d8e7cdc
	s_mov_b32 s29, 0xbfd71e95
	v_mad_u64_u32 v[4:5], s[0:1], s19, v4, v[1:2]
	s_mov_b32 s22, 0x370991
	s_mov_b32 s34, 0x4363dd80
	v_mad_u64_u32 v[5:6], s[0:1], s17, v180, v[3:4]
	v_mov_b32_e32 v1, v4
	v_lshlrev_b64 v[0:1], 4, v[0:1]
	v_mov_b32_e32 v6, s3
	v_mov_b32_e32 v3, v5
	v_add_co_u32_e32 v4, vcc, s2, v0
	v_addc_co_u32_e32 v5, vcc, v6, v1, vcc
	v_lshlrev_b64 v[0:1], 4, v[2:3]
	v_mov_b32_e32 v6, s13
	v_add_co_u32_e32 v4, vcc, v4, v0
	v_addc_co_u32_e32 v5, vcc, v5, v1, vcc
	global_load_dwordx4 v[72:75], v212, s[12:13]
	global_load_dwordx4 v[0:3], v[4:5], off
	v_add_co_u32_e64 v220, s[0:1], s12, v212
	s_movk_i32 s2, 0x1000
	s_movk_i32 s3, 0x2000
	v_addc_co_u32_e64 v71, vcc, 0, v6, s[0:1]
	v_add_co_u32_e32 v6, vcc, s2, v220
	v_add_co_u32_e64 v8, s[2:3], s3, v220
	v_add_co_u32_e64 v36, s[6:7], s6, v220
	v_addc_co_u32_e32 v7, vcc, 0, v71, vcc
	v_addc_co_u32_e64 v9, vcc, 0, v71, s[2:3]
	v_addc_co_u32_e64 v37, vcc, 0, v71, s[6:7]
	s_mul_i32 s3, s17, 0x770
	s_mul_hi_u32 s6, s16, 0x770
	s_mul_i32 s2, s16, 0x770
	s_add_i32 s3, s6, s3
	global_load_dwordx4 v[140:143], v212, s[12:13] offset:1904
	global_load_dwordx4 v[136:139], v212, s[12:13] offset:3808
	global_load_dwordx4 v[132:135], v[6:7], off offset:1616
	global_load_dwordx4 v[128:131], v[6:7], off offset:3520
	;; [unrolled: 1-line block ×4, first 2 shown]
	v_mov_b32_e32 v6, s3
	v_add_co_u32_e32 v7, vcc, s2, v4
	v_addc_co_u32_e32 v8, vcc, v5, v6, vcc
	v_mov_b32_e32 v10, s3
	v_add_co_u32_e32 v9, vcc, s2, v7
	v_addc_co_u32_e32 v10, vcc, v8, v10, vcc
	v_mov_b32_e32 v11, s3
	v_add_co_u32_e32 v15, vcc, s2, v9
	v_addc_co_u32_e32 v16, vcc, v10, v11, vcc
	v_mov_b32_e32 v17, s3
	v_add_co_u32_e32 v19, vcc, s2, v15
	v_addc_co_u32_e32 v20, vcc, v16, v17, vcc
	v_mov_b32_e32 v21, s3
	v_add_co_u32_e32 v23, vcc, s2, v19
	v_addc_co_u32_e32 v24, vcc, v20, v21, vcc
	v_mov_b32_e32 v25, s3
	v_add_co_u32_e32 v27, vcc, s2, v23
	v_addc_co_u32_e32 v28, vcc, v24, v25, vcc
	v_mov_b32_e32 v29, s3
	v_add_co_u32_e32 v32, vcc, s2, v27
	v_addc_co_u32_e32 v33, vcc, v28, v29, vcc
	v_mov_b32_e32 v34, s3
	v_add_co_u32_e32 v38, vcc, s2, v32
	v_addc_co_u32_e32 v39, vcc, v33, v34, vcc
	global_load_dwordx4 v[4:7], v[7:8], off
	v_add_co_u32_e32 v40, vcc, s2, v38
	global_load_dwordx4 v[12:15], v[15:16], off
	s_movk_i32 s6, 0x4000
	global_load_dwordx4 v[8:11], v[9:10], off
	v_mov_b32_e32 v42, s3
	global_load_dwordx4 v[16:19], v[19:20], off
	v_mov_b32_e32 v50, s3
	;; [unrolled: 2-line block ×4, first 2 shown]
	global_load_dwordx4 v[28:31], v[32:33], off
	s_nop 0
	global_load_dwordx4 v[32:35], v[38:39], off
	global_load_dwordx4 v[112:115], v[36:37], off offset:1040
	global_load_dwordx4 v[88:91], v[36:37], off offset:2944
	v_mov_b32_e32 v36, s3
	v_addc_co_u32_e32 v41, vcc, v39, v36, vcc
	v_add_co_u32_e32 v44, vcc, s6, v220
	v_addc_co_u32_e32 v45, vcc, 0, v71, vcc
	v_add_co_u32_e32 v46, vcc, s2, v40
	v_addc_co_u32_e32 v47, vcc, v41, v42, vcc
	global_load_dwordx4 v[36:39], v[40:41], off
	s_nop 0
	global_load_dwordx4 v[40:43], v[46:47], off
	global_load_dwordx4 v[116:119], v[44:45], off offset:752
	global_load_dwordx4 v[92:95], v[44:45], off offset:2656
	v_mov_b32_e32 v44, s3
	v_add_co_u32_e32 v48, vcc, s2, v46
	v_addc_co_u32_e32 v49, vcc, v47, v44, vcc
	s_movk_i32 s6, 0x5000
	v_add_co_u32_e32 v52, vcc, s6, v220
	v_addc_co_u32_e32 v53, vcc, 0, v71, vcc
	v_add_co_u32_e32 v54, vcc, s2, v48
	v_addc_co_u32_e32 v55, vcc, v49, v50, vcc
	global_load_dwordx4 v[44:47], v[48:49], off
	s_nop 0
	global_load_dwordx4 v[48:51], v[54:55], off
	global_load_dwordx4 v[120:123], v[52:53], off offset:464
	global_load_dwordx4 v[96:99], v[52:53], off offset:2368
	v_mov_b32_e32 v52, s3
	v_add_co_u32_e32 v56, vcc, s2, v54
	v_addc_co_u32_e32 v57, vcc, v55, v52, vcc
	s_movk_i32 s6, 0x6000
	v_add_co_u32_e32 v64, vcc, s6, v220
	v_addc_co_u32_e32 v65, vcc, 0, v71, vcc
	s_waitcnt vmcnt(24)
	v_mul_f64 v[68:69], v[2:3], v[74:75]
	v_add_co_u32_e32 v60, vcc, s2, v56
	v_addc_co_u32_e32 v61, vcc, v57, v58, vcc
	v_add_co_u32_e32 v66, vcc, s2, v60
	v_addc_co_u32_e32 v67, vcc, v61, v62, vcc
	global_load_dwordx4 v[52:55], v[56:57], off
	s_nop 0
	global_load_dwordx4 v[56:59], v[60:61], off
	global_load_dwordx4 v[124:127], v[64:65], off offset:176
	global_load_dwordx4 v[100:103], v[64:65], off offset:2080
	s_nop 0
	global_load_dwordx4 v[60:63], v[66:67], off
	global_load_dwordx4 v[84:87], v[64:65], off offset:3984
	v_mov_b32_e32 v65, s3
	v_add_co_u32_e32 v64, vcc, s2, v66
	v_addc_co_u32_e32 v65, vcc, v67, v65, vcc
	s_movk_i32 s2, 0x7000
	v_add_co_u32_e32 v70, vcc, s2, v220
	v_addc_co_u32_e32 v71, vcc, 0, v71, vcc
	global_load_dwordx4 v[64:67], v[64:65], off
	s_mov_b32 s23, 0x3fedd6d0
	global_load_dwordx4 v[108:111], v[70:71], off offset:1792
	v_mul_f64 v[70:71], v[0:1], v[74:75]
	v_fma_f64 v[0:1], v[0:1], v[72:73], v[68:69]
	buffer_store_dword v72, off, s[60:63], 0 offset:76 ; 4-byte Folded Spill
	s_nop 0
	buffer_store_dword v73, off, s[60:63], 0 offset:80 ; 4-byte Folded Spill
	buffer_store_dword v74, off, s[60:63], 0 offset:84 ; 4-byte Folded Spill
	;; [unrolled: 1-line block ×3, first 2 shown]
	s_load_dwordx4 s[8:11], s[10:11], 0x0
	s_waitcnt vmcnt(28)
	v_mul_f64 v[74:75], v[12:13], v[134:135]
	s_mov_b32 s35, 0xbfe0d888
	s_waitcnt vmcnt(27)
	v_mul_f64 v[68:69], v[10:11], v[138:139]
	s_mov_b32 s44, 0x2a9d6da3
	s_waitcnt vmcnt(26)
	v_mul_f64 v[76:77], v[18:19], v[130:131]
	v_mul_f64 v[78:79], v[16:17], v[130:131]
	s_mov_b32 s50, 0x7c9e640b
	s_mov_b32 s40, 0xeb564b22
	;; [unrolled: 1-line block ×13, first 2 shown]
	s_load_dwordx2 s[2:3], s[4:5], 0x38
	s_mov_b32 s16, 0x75d4884
	s_mov_b32 s6, 0x2b2883cd
	;; [unrolled: 1-line block ×24, first 2 shown]
	v_cmp_gt_u16_e32 vcc, 51, v180
                                        ; implicit-def: $vgpr144_vgpr145
                                        ; implicit-def: $vgpr148_vgpr149
	v_fma_f64 v[2:3], v[2:3], v[72:73], -v[70:71]
	v_mul_f64 v[72:73], v[14:15], v[134:135]
	v_mul_f64 v[70:71], v[8:9], v[138:139]
	ds_write_b128 v212, v[0:3]
	v_mul_f64 v[0:1], v[6:7], v[142:143]
	v_mul_f64 v[2:3], v[4:5], v[142:143]
	v_fma_f64 v[0:1], v[4:5], v[140:141], v[0:1]
	buffer_store_dword v140, off, s[60:63], 0 offset:332 ; 4-byte Folded Spill
	s_nop 0
	buffer_store_dword v141, off, s[60:63], 0 offset:336 ; 4-byte Folded Spill
	buffer_store_dword v142, off, s[60:63], 0 offset:340 ; 4-byte Folded Spill
	buffer_store_dword v143, off, s[60:63], 0 offset:344 ; 4-byte Folded Spill
	v_fma_f64 v[4:5], v[8:9], v[136:137], v[68:69]
	buffer_store_dword v136, off, s[60:63], 0 offset:316 ; 4-byte Folded Spill
	s_nop 0
	buffer_store_dword v137, off, s[60:63], 0 offset:320 ; 4-byte Folded Spill
	buffer_store_dword v138, off, s[60:63], 0 offset:324 ; 4-byte Folded Spill
	buffer_store_dword v139, off, s[60:63], 0 offset:328 ; 4-byte Folded Spill
	;; [unrolled: 6-line block ×4, first 2 shown]
	s_waitcnt vmcnt(41)
	v_mul_f64 v[16:17], v[22:23], v[106:107]
	s_waitcnt vmcnt(40)
	v_mul_f64 v[68:69], v[26:27], v[82:83]
	;; [unrolled: 2-line block ×4, first 2 shown]
	v_fma_f64 v[16:17], v[20:21], v[104:105], v[16:17]
	v_fma_f64 v[2:3], v[6:7], v[140:141], -v[2:3]
	v_fma_f64 v[6:7], v[10:11], v[136:137], -v[70:71]
	v_mul_f64 v[70:71], v[24:25], v[82:83]
	v_fma_f64 v[10:11], v[14:15], v[132:133], -v[74:75]
	v_mul_f64 v[74:75], v[28:29], v[114:115]
	;; [unrolled: 2-line block ×3, first 2 shown]
	buffer_store_dword v104, off, s[60:63], 0 offset:188 ; 4-byte Folded Spill
	s_nop 0
	buffer_store_dword v105, off, s[60:63], 0 offset:192 ; 4-byte Folded Spill
	buffer_store_dword v106, off, s[60:63], 0 offset:196 ; 4-byte Folded Spill
	;; [unrolled: 1-line block ×3, first 2 shown]
	v_fma_f64 v[20:21], v[24:25], v[80:81], v[68:69]
	buffer_store_dword v80, off, s[60:63], 0 offset:92 ; 4-byte Folded Spill
	s_nop 0
	buffer_store_dword v81, off, s[60:63], 0 offset:96 ; 4-byte Folded Spill
	buffer_store_dword v82, off, s[60:63], 0 offset:100 ; 4-byte Folded Spill
	;; [unrolled: 1-line block ×3, first 2 shown]
	v_fma_f64 v[24:25], v[28:29], v[112:113], v[72:73]
	buffer_store_dword v112, off, s[60:63], 0 offset:220 ; 4-byte Folded Spill
	s_nop 0
	buffer_store_dword v113, off, s[60:63], 0 offset:224 ; 4-byte Folded Spill
	buffer_store_dword v114, off, s[60:63], 0 offset:228 ; 4-byte Folded Spill
	;; [unrolled: 1-line block ×3, first 2 shown]
	v_mul_f64 v[78:79], v[32:33], v[90:91]
	v_fma_f64 v[28:29], v[32:33], v[88:89], v[76:77]
	buffer_store_dword v88, off, s[60:63], 0 offset:124 ; 4-byte Folded Spill
	s_nop 0
	buffer_store_dword v89, off, s[60:63], 0 offset:128 ; 4-byte Folded Spill
	buffer_store_dword v90, off, s[60:63], 0 offset:132 ; 4-byte Folded Spill
	;; [unrolled: 1-line block ×3, first 2 shown]
	v_fma_f64 v[18:19], v[22:23], v[104:105], -v[18:19]
	v_fma_f64 v[22:23], v[26:27], v[80:81], -v[70:71]
	;; [unrolled: 1-line block ×4, first 2 shown]
	ds_write_b128 v212, v[0:3] offset:1904
	ds_write_b128 v212, v[4:7] offset:3808
	;; [unrolled: 1-line block ×8, first 2 shown]
	s_waitcnt vmcnt(49)
	v_mul_f64 v[0:1], v[38:39], v[118:119]
	s_waitcnt vmcnt(48)
	v_mul_f64 v[4:5], v[42:43], v[94:95]
	;; [unrolled: 2-line block ×8, first 2 shown]
	v_mul_f64 v[2:3], v[36:37], v[118:119]
	v_fma_f64 v[0:1], v[36:37], v[116:117], v[0:1]
	buffer_store_dword v116, off, s[60:63], 0 offset:236 ; 4-byte Folded Spill
	s_nop 0
	buffer_store_dword v117, off, s[60:63], 0 offset:240 ; 4-byte Folded Spill
	buffer_store_dword v118, off, s[60:63], 0 offset:244 ; 4-byte Folded Spill
	buffer_store_dword v119, off, s[60:63], 0 offset:248 ; 4-byte Folded Spill
	v_mul_f64 v[6:7], v[40:41], v[94:95]
	v_fma_f64 v[4:5], v[40:41], v[92:93], v[4:5]
	buffer_store_dword v92, off, s[60:63], 0 offset:140 ; 4-byte Folded Spill
	s_nop 0
	buffer_store_dword v93, off, s[60:63], 0 offset:144 ; 4-byte Folded Spill
	buffer_store_dword v94, off, s[60:63], 0 offset:148 ; 4-byte Folded Spill
	buffer_store_dword v95, off, s[60:63], 0 offset:152 ; 4-byte Folded Spill
	;; [unrolled: 7-line block ×8, first 2 shown]
	v_fma_f64 v[2:3], v[38:39], v[116:117], -v[2:3]
	v_fma_f64 v[6:7], v[42:43], v[92:93], -v[6:7]
	;; [unrolled: 1-line block ×8, first 2 shown]
	ds_write_b128 v212, v[0:3] offset:17136
	ds_write_b128 v212, v[4:7] offset:19040
	;; [unrolled: 1-line block ×8, first 2 shown]
	s_waitcnt vmcnt(0) lgkmcnt(0)
	s_barrier
	ds_read_b128 v[20:23], v212
	ds_read_b128 v[24:27], v212 offset:1904
	ds_read_b128 v[28:31], v212 offset:3808
	;; [unrolled: 1-line block ×5, first 2 shown]
	s_waitcnt lgkmcnt(4)
	v_add_f64 v[0:1], v[20:21], v[24:25]
	v_add_f64 v[2:3], v[22:23], v[26:27]
	ds_read_b128 v[8:11], v212 offset:11424
	ds_read_b128 v[72:75], v212 offset:13328
	;; [unrolled: 1-line block ×4, first 2 shown]
	s_waitcnt lgkmcnt(7)
	v_add_f64 v[0:1], v[0:1], v[28:29]
	v_add_f64 v[2:3], v[2:3], v[30:31]
	s_waitcnt lgkmcnt(6)
	v_add_f64 v[0:1], v[0:1], v[32:33]
	v_add_f64 v[2:3], v[2:3], v[34:35]
	;; [unrolled: 3-line block ×6, first 2 shown]
	ds_read_b128 v[0:3], v212 offset:15232
	s_waitcnt lgkmcnt(0)
	v_add_f64 v[12:13], v[4:5], v[0:1]
	v_add_f64 v[14:15], v[6:7], v[2:3]
	ds_read_b128 v[4:7], v212 offset:17136
	s_waitcnt lgkmcnt(0)
	v_add_f64 v[12:13], v[12:13], v[4:5]
	v_add_f64 v[14:15], v[14:15], v[6:7]
	;; [unrolled: 1-line block ×4, first 2 shown]
	ds_read_b128 v[12:15], v212 offset:20944
	s_waitcnt lgkmcnt(0)
	v_add_f64 v[16:17], v[16:17], v[12:13]
	v_add_f64 v[18:19], v[18:19], v[14:15]
	;; [unrolled: 1-line block ×4, first 2 shown]
	ds_read_b128 v[16:19], v212 offset:24752
	ds_read_b128 v[36:39], v212 offset:30464
	s_waitcnt lgkmcnt(0)
	v_add_f64 v[52:53], v[26:27], -v[38:39]
	v_add_f64 v[48:49], v[40:41], v[16:17]
	v_add_f64 v[50:51], v[42:43], v[18:19]
	v_add_f64 v[54:55], v[24:25], -v[36:37]
	ds_read_b128 v[40:43], v212 offset:26656
	ds_read_b128 v[44:47], v212 offset:28560
	v_add_f64 v[24:25], v[24:25], v[36:37]
	v_add_f64 v[26:27], v[26:27], v[38:39]
	s_waitcnt lgkmcnt(0)
	v_mul_f64 v[56:57], v[52:53], s[28:29]
	v_add_f64 v[48:49], v[48:49], v[40:41]
	v_add_f64 v[50:51], v[50:51], v[42:43]
	v_mul_f64 v[58:59], v[54:55], s[28:29]
	v_mul_f64 v[116:117], v[52:53], s[34:35]
	v_add_f64 v[128:129], v[30:31], -v[46:47]
	v_mul_f64 v[118:119], v[54:55], s[34:35]
	v_add_f64 v[130:131], v[28:29], -v[44:45]
	v_fma_f64 v[60:61], v[24:25], s[22:23], -v[56:57]
	v_add_f64 v[48:49], v[48:49], v[44:45]
	v_add_f64 v[50:51], v[50:51], v[46:47]
	v_fma_f64 v[62:63], v[26:27], s[22:23], v[58:59]
	v_mul_f64 v[96:97], v[52:53], s[40:41]
	v_mul_f64 v[100:101], v[52:53], s[20:21]
	;; [unrolled: 1-line block ×3, first 2 shown]
	v_fma_f64 v[124:125], v[24:25], s[30:31], -v[116:117]
	v_fma_f64 v[116:117], v[24:25], s[30:31], v[116:117]
	v_add_f64 v[68:69], v[48:49], v[36:37]
	v_add_f64 v[36:37], v[20:21], v[60:61]
	v_fma_f64 v[48:49], v[24:25], s[22:23], v[56:57]
	v_mul_f64 v[56:57], v[52:53], s[44:45]
	v_mul_f64 v[60:61], v[52:53], s[50:51]
	v_mul_f64 v[52:53], v[52:53], s[36:37]
	v_add_f64 v[28:29], v[28:29], v[44:45]
	v_mul_f64 v[44:45], v[128:129], s[44:45]
	v_add_f64 v[70:71], v[50:51], v[38:39]
	v_add_f64 v[38:39], v[22:23], v[62:63]
	v_fma_f64 v[50:51], v[26:27], s[22:23], -v[58:59]
	v_mul_f64 v[58:59], v[54:55], s[44:45]
	v_mul_f64 v[62:63], v[54:55], s[50:51]
	;; [unrolled: 1-line block ×5, first 2 shown]
	v_fma_f64 v[126:127], v[26:27], s[30:31], v[118:119]
	v_fma_f64 v[118:119], v[26:27], s[30:31], -v[118:119]
	v_mul_f64 v[54:55], v[54:55], s[36:37]
	v_add_f64 v[30:31], v[30:31], v[46:47]
	v_mul_f64 v[46:47], v[130:131], s[44:45]
	v_fma_f64 v[64:65], v[24:25], s[16:17], -v[56:57]
	v_fma_f64 v[56:57], v[24:25], s[16:17], v[56:57]
	v_fma_f64 v[92:93], v[24:25], s[6:7], -v[60:61]
	v_fma_f64 v[60:61], v[24:25], s[6:7], v[60:61]
	;; [unrolled: 2-line block ×6, first 2 shown]
	v_add_f64 v[52:53], v[20:21], v[116:117]
	v_fma_f64 v[116:117], v[28:29], s[16:17], -v[44:45]
	v_fma_f64 v[66:67], v[26:27], s[16:17], v[58:59]
	v_fma_f64 v[58:59], v[26:27], s[16:17], -v[58:59]
	v_fma_f64 v[94:95], v[26:27], s[6:7], v[62:63]
	;; [unrolled: 2-line block ×6, first 2 shown]
	v_fma_f64 v[26:27], v[26:27], s[38:39], -v[54:55]
	v_add_f64 v[54:55], v[22:23], v[118:119]
	v_fma_f64 v[118:119], v[30:31], s[16:17], v[46:47]
	v_add_f64 v[48:49], v[20:21], v[48:49]
	v_add_f64 v[64:65], v[20:21], v[64:65]
	;; [unrolled: 1-line block ×14, first 2 shown]
	v_mul_f64 v[24:25], v[128:129], s[40:41]
	v_add_f64 v[36:37], v[116:117], v[36:37]
	v_mul_f64 v[116:117], v[128:129], s[26:27]
	v_add_f64 v[50:51], v[22:23], v[50:51]
	v_add_f64 v[66:67], v[22:23], v[66:67]
	;; [unrolled: 1-line block ×14, first 2 shown]
	v_mul_f64 v[26:27], v[130:131], s[40:41]
	v_add_f64 v[38:39], v[118:119], v[38:39]
	v_mul_f64 v[118:119], v[130:131], s[26:27]
	v_fma_f64 v[44:45], v[28:29], s[16:17], v[44:45]
	v_fma_f64 v[136:137], v[28:29], s[4:5], -v[24:25]
	v_fma_f64 v[24:25], v[28:29], s[4:5], v[24:25]
	v_fma_f64 v[140:141], v[28:29], s[24:25], -v[116:117]
	v_fma_f64 v[46:47], v[30:31], s[16:17], -v[46:47]
	v_fma_f64 v[138:139], v[30:31], s[4:5], v[26:27]
	v_fma_f64 v[26:27], v[30:31], s[4:5], -v[26:27]
	v_fma_f64 v[142:143], v[30:31], s[24:25], v[118:119]
	v_add_f64 v[44:45], v[44:45], v[48:49]
	v_add_f64 v[48:49], v[136:137], v[64:65]
	;; [unrolled: 1-line block ×4, first 2 shown]
	v_mul_f64 v[64:65], v[128:129], s[36:37]
	v_mul_f64 v[92:93], v[128:129], s[54:55]
	v_add_f64 v[46:47], v[46:47], v[50:51]
	v_add_f64 v[50:51], v[138:139], v[66:67]
	;; [unrolled: 1-line block ×4, first 2 shown]
	v_mul_f64 v[66:67], v[130:131], s[36:37]
	v_mul_f64 v[94:95], v[130:131], s[54:55]
	v_fma_f64 v[136:137], v[28:29], s[38:39], -v[64:65]
	v_fma_f64 v[64:65], v[28:29], s[38:39], v[64:65]
	v_fma_f64 v[140:141], v[28:29], s[30:31], -v[92:93]
	v_fma_f64 v[116:117], v[28:29], s[24:25], v[116:117]
	;; [unrolled: 2-line block ×3, first 2 shown]
	v_fma_f64 v[138:139], v[30:31], s[38:39], v[66:67]
	v_fma_f64 v[66:67], v[30:31], s[38:39], -v[66:67]
	v_fma_f64 v[142:143], v[30:31], s[30:31], v[94:95]
	v_add_f64 v[64:65], v[64:65], v[96:97]
	v_add_f64 v[96:97], v[140:141], v[108:109]
	v_mul_f64 v[108:109], v[128:129], s[52:53]
	v_add_f64 v[60:61], v[116:117], v[60:61]
	v_add_f64 v[104:105], v[136:137], v[104:105]
	v_mul_f64 v[116:117], v[128:129], s[42:43]
	;; [unrolled: 3-line block ×3, first 2 shown]
	v_add_f64 v[62:63], v[118:119], v[62:63]
	v_fma_f64 v[136:137], v[28:29], s[18:19], -v[108:109]
	v_add_f64 v[106:107], v[138:139], v[106:107]
	v_mul_f64 v[118:119], v[130:131], s[42:43]
	v_fma_f64 v[94:95], v[30:31], s[30:31], -v[94:95]
	v_fma_f64 v[108:109], v[28:29], s[18:19], v[108:109]
	v_fma_f64 v[140:141], v[28:29], s[6:7], -v[116:117]
	v_fma_f64 v[138:139], v[30:31], s[18:19], v[110:111]
	v_add_f64 v[92:93], v[92:93], v[100:101]
	v_add_f64 v[100:101], v[136:137], v[120:121]
	v_add_f64 v[120:121], v[34:35], -v[42:43]
	v_fma_f64 v[110:111], v[30:31], s[18:19], -v[110:111]
	v_fma_f64 v[142:143], v[30:31], s[6:7], v[118:119]
	v_add_f64 v[94:95], v[94:95], v[102:103]
	v_add_f64 v[108:109], v[108:109], v[112:113]
	;; [unrolled: 1-line block ×3, first 2 shown]
	v_add_f64 v[122:123], v[32:33], -v[40:41]
	v_add_f64 v[112:113], v[140:141], v[124:125]
	v_mul_f64 v[124:125], v[128:129], s[46:47]
	v_add_f64 v[32:33], v[32:33], v[40:41]
	v_mul_f64 v[40:41], v[120:121], s[50:51]
	v_add_f64 v[110:111], v[110:111], v[114:115]
	v_add_f64 v[114:115], v[142:143], v[126:127]
	v_mul_f64 v[126:127], v[130:131], s[46:47]
	v_add_f64 v[34:35], v[34:35], v[42:43]
	v_mul_f64 v[42:43], v[122:123], s[50:51]
	v_fma_f64 v[116:117], v[28:29], s[6:7], v[116:117]
	v_fma_f64 v[128:129], v[28:29], s[22:23], -v[124:125]
	v_fma_f64 v[28:29], v[28:29], s[22:23], v[124:125]
	v_fma_f64 v[124:125], v[32:33], s[6:7], -v[40:41]
	v_fma_f64 v[118:119], v[30:31], s[6:7], -v[118:119]
	v_fma_f64 v[130:131], v[30:31], s[22:23], v[126:127]
	v_fma_f64 v[30:31], v[30:31], s[22:23], -v[126:127]
	v_fma_f64 v[126:127], v[34:35], s[6:7], v[42:43]
	v_add_f64 v[52:53], v[116:117], v[52:53]
	v_add_f64 v[116:117], v[128:129], v[132:133]
	;; [unrolled: 1-line block ×4, first 2 shown]
	v_mul_f64 v[36:37], v[120:121], s[26:27]
	v_mul_f64 v[124:125], v[120:121], s[48:49]
	v_add_f64 v[22:23], v[30:31], v[22:23]
	v_add_f64 v[30:31], v[126:127], v[38:39]
	v_mul_f64 v[38:39], v[122:123], s[26:27]
	v_mul_f64 v[126:127], v[122:123], s[48:49]
	v_fma_f64 v[40:41], v[32:33], s[6:7], v[40:41]
	v_add_f64 v[54:55], v[118:119], v[54:55]
	v_fma_f64 v[128:129], v[32:33], s[24:25], -v[36:37]
	v_fma_f64 v[36:37], v[32:33], s[24:25], v[36:37]
	v_fma_f64 v[132:133], v[32:33], s[38:39], -v[124:125]
	v_add_f64 v[118:119], v[130:131], v[134:135]
	v_fma_f64 v[42:43], v[34:35], s[6:7], -v[42:43]
	v_fma_f64 v[130:131], v[34:35], s[24:25], v[38:39]
	v_fma_f64 v[38:39], v[34:35], s[24:25], -v[38:39]
	v_fma_f64 v[134:135], v[34:35], s[38:39], v[126:127]
	s_mov_b32 s49, 0x3fe58eea
	s_mov_b32 s48, s44
	v_add_f64 v[40:41], v[40:41], v[44:45]
	v_add_f64 v[44:45], v[128:129], v[48:49]
	v_add_f64 v[24:25], v[36:37], v[24:25]
	v_add_f64 v[36:37], v[132:133], v[56:57]
	v_mul_f64 v[48:49], v[120:121], s[52:53]
	v_fma_f64 v[56:57], v[32:33], s[38:39], v[124:125]
	v_mul_f64 v[124:125], v[120:121], s[48:49]
	v_add_f64 v[42:43], v[42:43], v[46:47]
	v_add_f64 v[46:47], v[130:131], v[50:51]
	;; [unrolled: 1-line block ×4, first 2 shown]
	v_mul_f64 v[50:51], v[122:123], s[52:53]
	v_fma_f64 v[58:59], v[34:35], s[38:39], -v[126:127]
	v_mul_f64 v[126:127], v[122:123], s[48:49]
	v_fma_f64 v[128:129], v[32:33], s[18:19], -v[48:49]
	v_fma_f64 v[48:49], v[32:33], s[18:19], v[48:49]
	v_add_f64 v[56:57], v[56:57], v[60:61]
	v_fma_f64 v[60:61], v[32:33], s[16:17], -v[124:125]
	v_fma_f64 v[124:125], v[32:33], s[16:17], v[124:125]
	v_fma_f64 v[130:131], v[34:35], s[18:19], v[50:51]
	v_fma_f64 v[50:51], v[34:35], s[18:19], -v[50:51]
	v_add_f64 v[58:59], v[58:59], v[62:63]
	v_fma_f64 v[62:63], v[34:35], s[16:17], v[126:127]
	v_add_f64 v[48:49], v[48:49], v[64:65]
	v_mul_f64 v[64:65], v[120:121], s[28:29]
	v_add_f64 v[60:61], v[60:61], v[96:97]
	v_mul_f64 v[96:97], v[120:121], s[40:41]
	v_add_f64 v[104:105], v[128:129], v[104:105]
	v_add_f64 v[50:51], v[50:51], v[66:67]
	v_mul_f64 v[66:67], v[122:123], s[28:29]
	v_add_f64 v[62:63], v[62:63], v[98:99]
	v_mul_f64 v[98:99], v[122:123], s[40:41]
	v_fma_f64 v[128:129], v[32:33], s[22:23], -v[64:65]
	v_fma_f64 v[64:65], v[32:33], s[22:23], v[64:65]
	v_fma_f64 v[132:133], v[32:33], s[4:5], -v[96:97]
	v_add_f64 v[106:107], v[130:131], v[106:107]
	v_mul_f64 v[120:121], v[120:121], s[34:35]
	v_fma_f64 v[130:131], v[34:35], s[22:23], v[66:67]
	v_fma_f64 v[66:67], v[34:35], s[22:23], -v[66:67]
	v_fma_f64 v[134:135], v[34:35], s[4:5], v[98:99]
	v_fma_f64 v[96:97], v[32:33], s[4:5], v[96:97]
	v_add_f64 v[64:65], v[64:65], v[108:109]
	v_add_f64 v[108:109], v[132:133], v[112:113]
	v_add_f64 v[112:113], v[90:91], -v[18:19]
	v_fma_f64 v[126:127], v[34:35], s[16:17], -v[126:127]
	v_mul_f64 v[122:123], v[122:123], s[34:35]
	v_add_f64 v[66:67], v[66:67], v[110:111]
	v_add_f64 v[110:111], v[134:135], v[114:115]
	v_add_f64 v[114:115], v[88:89], -v[16:17]
	v_add_f64 v[16:17], v[88:89], v[16:17]
	v_fma_f64 v[98:99], v[34:35], s[4:5], -v[98:99]
	v_mul_f64 v[88:89], v[112:113], s[40:41]
	v_add_f64 v[18:19], v[90:91], v[18:19]
	v_add_f64 v[92:93], v[124:125], v[92:93]
	v_fma_f64 v[124:125], v[32:33], s[30:31], -v[120:121]
	v_fma_f64 v[32:33], v[32:33], s[30:31], v[120:121]
	v_mul_f64 v[90:91], v[114:115], s[40:41]
	v_add_f64 v[52:53], v[96:97], v[52:53]
	v_add_f64 v[94:95], v[126:127], v[94:95]
	v_fma_f64 v[96:97], v[16:17], s[4:5], -v[88:89]
	v_fma_f64 v[126:127], v[34:35], s[30:31], v[122:123]
	v_fma_f64 v[34:35], v[34:35], s[30:31], -v[122:123]
	v_add_f64 v[54:55], v[98:99], v[54:55]
	v_add_f64 v[20:21], v[32:33], v[20:21]
	v_fma_f64 v[98:99], v[18:19], s[4:5], v[90:91]
	v_mul_f64 v[32:33], v[112:113], s[36:37]
	v_fma_f64 v[88:89], v[16:17], s[4:5], v[88:89]
	v_add_f64 v[28:29], v[96:97], v[28:29]
	v_mul_f64 v[96:97], v[112:113], s[52:53]
	v_add_f64 v[22:23], v[34:35], v[22:23]
	v_mul_f64 v[34:35], v[114:115], s[36:37]
	v_fma_f64 v[90:91], v[18:19], s[4:5], -v[90:91]
	v_add_f64 v[30:31], v[98:99], v[30:31]
	v_mul_f64 v[98:99], v[114:115], s[52:53]
	v_fma_f64 v[120:121], v[16:17], s[38:39], -v[32:33]
	v_fma_f64 v[32:33], v[16:17], s[38:39], v[32:33]
	v_add_f64 v[40:41], v[88:89], v[40:41]
	v_fma_f64 v[88:89], v[16:17], s[18:19], -v[96:97]
	v_fma_f64 v[122:123], v[18:19], s[38:39], v[34:35]
	v_fma_f64 v[34:35], v[18:19], s[38:39], -v[34:35]
	v_add_f64 v[42:43], v[90:91], v[42:43]
	v_fma_f64 v[90:91], v[18:19], s[18:19], v[98:99]
	v_add_f64 v[116:117], v[124:125], v[116:117]
	v_add_f64 v[24:25], v[32:33], v[24:25]
	v_mul_f64 v[32:33], v[112:113], s[46:47]
	v_add_f64 v[36:37], v[88:89], v[36:37]
	v_mul_f64 v[88:89], v[112:113], s[50:51]
	;; [unrolled: 2-line block ×4, first 2 shown]
	v_add_f64 v[44:45], v[120:121], v[44:45]
	v_fma_f64 v[96:97], v[16:17], s[18:19], v[96:97]
	v_fma_f64 v[120:121], v[16:17], s[22:23], -v[32:33]
	v_fma_f64 v[32:33], v[16:17], s[22:23], v[32:33]
	v_fma_f64 v[124:125], v[16:17], s[6:7], -v[88:89]
	v_add_f64 v[118:119], v[126:127], v[118:119]
	v_add_f64 v[46:47], v[122:123], v[46:47]
	v_fma_f64 v[98:99], v[18:19], s[18:19], -v[98:99]
	v_fma_f64 v[122:123], v[18:19], s[22:23], v[34:35]
	v_fma_f64 v[34:35], v[18:19], s[22:23], -v[34:35]
	v_fma_f64 v[126:127], v[18:19], s[6:7], v[90:91]
	v_add_f64 v[56:57], v[96:97], v[56:57]
	v_add_f64 v[96:97], v[120:121], v[104:105]
	;; [unrolled: 1-line block ×4, first 2 shown]
	v_mul_f64 v[60:61], v[112:113], s[34:35]
	v_fma_f64 v[88:89], v[16:17], s[6:7], v[88:89]
	v_mul_f64 v[104:105], v[112:113], s[56:57]
	v_add_f64 v[58:59], v[98:99], v[58:59]
	v_add_f64 v[98:99], v[122:123], v[106:107]
	v_add_f64 v[34:35], v[34:35], v[50:51]
	v_add_f64 v[50:51], v[126:127], v[62:63]
	v_mul_f64 v[62:63], v[114:115], s[34:35]
	v_fma_f64 v[90:91], v[18:19], s[6:7], -v[90:91]
	v_mul_f64 v[106:107], v[114:115], s[56:57]
	v_fma_f64 v[120:121], v[16:17], s[30:31], -v[60:61]
	v_fma_f64 v[60:61], v[16:17], s[30:31], v[60:61]
	v_add_f64 v[88:89], v[88:89], v[92:93]
	v_fma_f64 v[92:93], v[16:17], s[24:25], -v[104:105]
	v_fma_f64 v[104:105], v[16:17], s[24:25], v[104:105]
	v_fma_f64 v[122:123], v[18:19], s[30:31], v[62:63]
	v_fma_f64 v[62:63], v[18:19], s[30:31], -v[62:63]
	v_add_f64 v[90:91], v[90:91], v[94:95]
	v_fma_f64 v[94:95], v[18:19], s[24:25], v[106:107]
	v_add_f64 v[60:61], v[60:61], v[64:65]
	v_mul_f64 v[64:65], v[112:113], s[48:49]
	v_add_f64 v[92:93], v[92:93], v[108:109]
	v_add_f64 v[108:109], v[82:83], -v[86:87]
	v_fma_f64 v[106:107], v[18:19], s[24:25], -v[106:107]
	v_add_f64 v[62:63], v[62:63], v[66:67]
	v_mul_f64 v[66:67], v[114:115], s[48:49]
	v_add_f64 v[94:95], v[94:95], v[110:111]
	v_add_f64 v[110:111], v[80:81], -v[84:85]
	v_fma_f64 v[112:113], v[16:17], s[16:17], -v[64:65]
	v_add_f64 v[80:81], v[80:81], v[84:85]
	v_mul_f64 v[84:85], v[108:109], s[20:21]
	v_fma_f64 v[16:17], v[16:17], s[16:17], v[64:65]
	v_add_f64 v[82:83], v[82:83], v[86:87]
	v_fma_f64 v[114:115], v[18:19], s[16:17], v[66:67]
	v_fma_f64 v[18:19], v[18:19], s[16:17], -v[66:67]
	v_mul_f64 v[86:87], v[110:111], s[20:21]
	v_add_f64 v[52:53], v[104:105], v[52:53]
	v_add_f64 v[54:55], v[106:107], v[54:55]
	v_fma_f64 v[104:105], v[80:81], s[18:19], -v[84:85]
	v_add_f64 v[16:17], v[16:17], v[20:21]
	v_mul_f64 v[20:21], v[108:109], s[54:55]
	v_add_f64 v[64:65], v[112:113], v[116:117]
	v_add_f64 v[18:19], v[18:19], v[22:23]
	v_fma_f64 v[106:107], v[82:83], s[18:19], v[86:87]
	v_mul_f64 v[22:23], v[110:111], s[54:55]
	v_fma_f64 v[84:85], v[80:81], s[18:19], v[84:85]
	v_add_f64 v[28:29], v[104:105], v[28:29]
	v_mul_f64 v[104:105], v[108:109], s[48:49]
	v_fma_f64 v[112:113], v[80:81], s[30:31], -v[20:21]
	v_add_f64 v[66:67], v[114:115], v[118:119]
	v_fma_f64 v[86:87], v[82:83], s[18:19], -v[86:87]
	v_add_f64 v[30:31], v[106:107], v[30:31]
	v_mul_f64 v[106:107], v[110:111], s[48:49]
	v_fma_f64 v[114:115], v[82:83], s[30:31], v[22:23]
	v_add_f64 v[40:41], v[84:85], v[40:41]
	v_fma_f64 v[20:21], v[80:81], s[30:31], v[20:21]
	v_fma_f64 v[84:85], v[80:81], s[16:17], -v[104:105]
	v_add_f64 v[44:45], v[112:113], v[44:45]
	v_mul_f64 v[112:113], v[108:109], s[50:51]
	v_add_f64 v[42:43], v[86:87], v[42:43]
	v_fma_f64 v[22:23], v[82:83], s[30:31], -v[22:23]
	v_fma_f64 v[86:87], v[82:83], s[16:17], v[106:107]
	v_add_f64 v[46:47], v[114:115], v[46:47]
	v_mul_f64 v[114:115], v[110:111], s[50:51]
	v_add_f64 v[20:21], v[20:21], v[24:25]
	v_add_f64 v[24:25], v[84:85], v[36:37]
	v_fma_f64 v[36:37], v[80:81], s[16:17], v[104:105]
	v_fma_f64 v[84:85], v[80:81], s[6:7], -v[112:113]
	v_add_f64 v[22:23], v[22:23], v[26:27]
	v_add_f64 v[26:27], v[86:87], v[38:39]
	v_fma_f64 v[38:39], v[82:83], s[16:17], -v[106:107]
	v_fma_f64 v[86:87], v[82:83], s[6:7], v[114:115]
	s_mov_b32 s51, 0x3fefdd0d
	s_mov_b32 s50, s40
	v_mul_f64 v[104:105], v[108:109], s[36:37]
	v_fma_f64 v[112:113], v[80:81], s[6:7], v[112:113]
	v_add_f64 v[36:37], v[36:37], v[56:57]
	v_add_f64 v[56:57], v[84:85], v[96:97]
	v_mul_f64 v[96:97], v[108:109], s[50:51]
	v_mul_f64 v[106:107], v[110:111], s[36:37]
	v_fma_f64 v[114:115], v[82:83], s[6:7], -v[114:115]
	v_add_f64 v[38:39], v[38:39], v[58:59]
	v_add_f64 v[58:59], v[86:87], v[98:99]
	v_mul_f64 v[98:99], v[110:111], s[50:51]
	v_fma_f64 v[84:85], v[80:81], s[38:39], -v[104:105]
	v_add_f64 v[32:33], v[112:113], v[32:33]
	v_fma_f64 v[112:113], v[80:81], s[4:5], -v[96:97]
	v_fma_f64 v[96:97], v[80:81], s[4:5], v[96:97]
	v_fma_f64 v[86:87], v[82:83], s[38:39], v[106:107]
	v_add_f64 v[34:35], v[114:115], v[34:35]
	v_fma_f64 v[104:105], v[80:81], s[38:39], v[104:105]
	v_fma_f64 v[114:115], v[82:83], s[4:5], v[98:99]
	v_fma_f64 v[98:99], v[82:83], s[4:5], -v[98:99]
	v_add_f64 v[48:49], v[84:85], v[48:49]
	v_mul_f64 v[84:85], v[108:109], s[28:29]
	v_add_f64 v[60:61], v[96:97], v[60:61]
	v_add_f64 v[96:97], v[10:11], -v[14:15]
	v_add_f64 v[50:51], v[86:87], v[50:51]
	v_mul_f64 v[86:87], v[110:111], s[28:29]
	v_fma_f64 v[106:107], v[82:83], s[38:39], -v[106:107]
	v_add_f64 v[62:63], v[98:99], v[62:63]
	v_add_f64 v[98:99], v[8:9], -v[12:13]
	v_fma_f64 v[116:117], v[80:81], s[22:23], -v[84:85]
	v_add_f64 v[88:89], v[104:105], v[88:89]
	v_mul_f64 v[104:105], v[108:109], s[26:27]
	v_fma_f64 v[84:85], v[80:81], s[22:23], v[84:85]
	v_add_f64 v[8:9], v[8:9], v[12:13]
	v_mul_f64 v[12:13], v[96:97], s[26:27]
	v_fma_f64 v[118:119], v[82:83], s[22:23], v[86:87]
	v_add_f64 v[90:91], v[106:107], v[90:91]
	v_mul_f64 v[106:107], v[110:111], s[26:27]
	v_fma_f64 v[86:87], v[82:83], s[22:23], -v[86:87]
	v_add_f64 v[10:11], v[10:11], v[14:15]
	v_mul_f64 v[14:15], v[98:99], s[26:27]
	v_fma_f64 v[108:109], v[80:81], s[24:25], -v[104:105]
	v_fma_f64 v[80:81], v[80:81], s[24:25], v[104:105]
	v_add_f64 v[52:53], v[84:85], v[52:53]
	v_fma_f64 v[84:85], v[8:9], s[24:25], -v[12:13]
	v_fma_f64 v[110:111], v[82:83], s[24:25], v[106:107]
	v_fma_f64 v[82:83], v[82:83], s[24:25], -v[106:107]
	v_add_f64 v[54:55], v[86:87], v[54:55]
	v_fma_f64 v[86:87], v[10:11], s[24:25], v[14:15]
	v_fma_f64 v[12:13], v[8:9], s[24:25], v[12:13]
	v_add_f64 v[16:17], v[80:81], v[16:17]
	v_mul_f64 v[80:81], v[96:97], s[52:53]
	v_add_f64 v[28:29], v[84:85], v[28:29]
	v_mul_f64 v[84:85], v[96:97], s[28:29]
	;; [unrolled: 2-line block ×3, first 2 shown]
	v_add_f64 v[30:31], v[86:87], v[30:31]
	v_fma_f64 v[14:15], v[10:11], s[24:25], -v[14:15]
	v_mul_f64 v[86:87], v[98:99], s[28:29]
	v_fma_f64 v[104:105], v[8:9], s[18:19], -v[80:81]
	v_fma_f64 v[80:81], v[8:9], s[18:19], v[80:81]
	v_add_f64 v[12:13], v[12:13], v[40:41]
	v_fma_f64 v[40:41], v[8:9], s[22:23], -v[84:85]
	v_fma_f64 v[106:107], v[10:11], s[18:19], v[82:83]
	v_fma_f64 v[82:83], v[10:11], s[18:19], -v[82:83]
	v_add_f64 v[14:15], v[14:15], v[42:43]
	v_fma_f64 v[42:43], v[10:11], s[22:23], v[86:87]
	v_add_f64 v[44:45], v[104:105], v[44:45]
	v_add_f64 v[20:21], v[80:81], v[20:21]
	v_mul_f64 v[80:81], v[96:97], s[34:35]
	v_add_f64 v[24:25], v[40:41], v[24:25]
	v_fma_f64 v[40:41], v[8:9], s[22:23], v[84:85]
	v_mul_f64 v[84:85], v[96:97], s[50:51]
	v_add_f64 v[22:23], v[82:83], v[22:23]
	v_mul_f64 v[82:83], v[98:99], s[34:35]
	v_add_f64 v[26:27], v[42:43], v[26:27]
	v_fma_f64 v[42:43], v[10:11], s[22:23], -v[86:87]
	v_mul_f64 v[86:87], v[98:99], s[50:51]
	v_fma_f64 v[104:105], v[8:9], s[30:31], -v[80:81]
	v_fma_f64 v[80:81], v[8:9], s[30:31], v[80:81]
	v_add_f64 v[36:37], v[40:41], v[36:37]
	v_fma_f64 v[40:41], v[8:9], s[4:5], -v[84:85]
	v_add_f64 v[46:47], v[106:107], v[46:47]
	v_fma_f64 v[106:107], v[10:11], s[30:31], v[82:83]
	v_fma_f64 v[82:83], v[10:11], s[30:31], -v[82:83]
	v_add_f64 v[38:39], v[42:43], v[38:39]
	v_fma_f64 v[42:43], v[10:11], s[4:5], v[86:87]
	v_add_f64 v[32:33], v[80:81], v[32:33]
	v_mul_f64 v[80:81], v[96:97], s[44:45]
	v_add_f64 v[40:41], v[40:41], v[48:49]
	v_mul_f64 v[48:49], v[96:97], s[36:37]
	v_add_f64 v[92:93], v[116:117], v[92:93]
	v_add_f64 v[34:35], v[82:83], v[34:35]
	v_mul_f64 v[82:83], v[98:99], s[44:45]
	v_add_f64 v[42:43], v[42:43], v[50:51]
	v_mul_f64 v[50:51], v[98:99], s[36:37]
	v_add_f64 v[64:65], v[108:109], v[64:65]
	v_add_f64 v[56:57], v[104:105], v[56:57]
	v_fma_f64 v[104:105], v[8:9], s[16:17], -v[80:81]
	v_fma_f64 v[80:81], v[8:9], s[16:17], v[80:81]
	v_fma_f64 v[108:109], v[8:9], s[38:39], -v[48:49]
	v_add_f64 v[94:95], v[118:119], v[94:95]
	v_add_f64 v[66:67], v[110:111], v[66:67]
	;; [unrolled: 1-line block ×3, first 2 shown]
	v_fma_f64 v[106:107], v[10:11], s[16:17], v[82:83]
	v_fma_f64 v[82:83], v[10:11], s[16:17], -v[82:83]
	v_fma_f64 v[110:111], v[10:11], s[38:39], v[50:51]
	v_add_f64 v[100:101], v[128:129], v[100:101]
	v_add_f64 v[60:61], v[80:81], v[60:61]
	;; [unrolled: 1-line block ×3, first 2 shown]
	v_add_f64 v[92:93], v[74:75], -v[78:79]
	v_add_f64 v[102:103], v[130:131], v[102:103]
	v_fma_f64 v[48:49], v[8:9], s[38:39], v[48:49]
	v_add_f64 v[62:63], v[82:83], v[62:63]
	v_add_f64 v[82:83], v[110:111], v[94:95]
	v_add_f64 v[94:95], v[72:73], -v[76:77]
	v_add_f64 v[100:101], v[120:121], v[100:101]
	v_add_f64 v[72:73], v[72:73], v[76:77]
	v_mul_f64 v[76:77], v[92:93], s[34:35]
	v_add_f64 v[102:103], v[122:123], v[102:103]
	v_fma_f64 v[50:51], v[10:11], s[38:39], -v[50:51]
	v_add_f64 v[74:75], v[74:75], v[78:79]
	v_fma_f64 v[84:85], v[8:9], s[4:5], v[84:85]
	v_mul_f64 v[78:79], v[94:95], s[34:35]
	v_add_f64 v[100:101], v[112:113], v[100:101]
	v_mul_f64 v[96:97], v[96:97], s[42:43]
	v_add_f64 v[48:49], v[48:49], v[52:53]
	v_fma_f64 v[52:53], v[72:73], s[30:31], -v[76:77]
	v_add_f64 v[102:103], v[114:115], v[102:103]
	v_fma_f64 v[86:87], v[10:11], s[4:5], -v[86:87]
	v_mul_f64 v[98:99], v[98:99], s[42:43]
	v_add_f64 v[50:51], v[50:51], v[54:55]
	v_fma_f64 v[54:55], v[74:75], s[30:31], v[78:79]
	v_add_f64 v[84:85], v[84:85], v[88:89]
	v_add_f64 v[88:89], v[104:105], v[100:101]
	v_fma_f64 v[100:101], v[8:9], s[6:7], -v[96:97]
	v_fma_f64 v[8:9], v[8:9], s[6:7], v[96:97]
	v_add_f64 v[28:29], v[52:53], v[28:29]
	v_fma_f64 v[52:53], v[72:73], s[30:31], v[76:77]
	v_mul_f64 v[76:77], v[92:93], s[40:41]
	v_add_f64 v[86:87], v[86:87], v[90:91]
	v_add_f64 v[90:91], v[106:107], v[102:103]
	v_fma_f64 v[102:103], v[10:11], s[6:7], v[98:99]
	v_fma_f64 v[10:11], v[10:11], s[6:7], -v[98:99]
	v_add_f64 v[30:31], v[54:55], v[30:31]
	v_fma_f64 v[54:55], v[74:75], s[30:31], -v[78:79]
	v_mul_f64 v[78:79], v[94:95], s[40:41]
	v_add_f64 v[8:9], v[8:9], v[16:17]
	v_mul_f64 v[16:17], v[92:93], s[42:43]
	v_add_f64 v[12:13], v[52:53], v[12:13]
	v_fma_f64 v[52:53], v[72:73], s[4:5], -v[76:77]
	v_add_f64 v[10:11], v[10:11], v[18:19]
	v_mul_f64 v[18:19], v[94:95], s[42:43]
	v_add_f64 v[14:15], v[54:55], v[14:15]
	v_fma_f64 v[54:55], v[74:75], s[4:5], v[78:79]
	v_add_f64 v[64:65], v[100:101], v[64:65]
	v_fma_f64 v[96:97], v[72:73], s[6:7], -v[16:17]
	v_fma_f64 v[16:17], v[72:73], s[6:7], v[16:17]
	v_add_f64 v[24:25], v[52:53], v[24:25]
	v_fma_f64 v[52:53], v[72:73], s[4:5], v[76:77]
	v_mul_f64 v[76:77], v[92:93], s[28:29]
	v_fma_f64 v[98:99], v[74:75], s[6:7], v[18:19]
	v_fma_f64 v[18:19], v[74:75], s[6:7], -v[18:19]
	v_add_f64 v[26:27], v[54:55], v[26:27]
	v_fma_f64 v[54:55], v[74:75], s[4:5], -v[78:79]
	v_mul_f64 v[78:79], v[94:95], s[28:29]
	v_add_f64 v[16:17], v[16:17], v[20:21]
	v_mul_f64 v[20:21], v[92:93], s[56:57]
	v_add_f64 v[36:37], v[52:53], v[36:37]
	v_fma_f64 v[52:53], v[72:73], s[22:23], -v[76:77]
	v_add_f64 v[18:19], v[18:19], v[22:23]
	v_mul_f64 v[22:23], v[94:95], s[56:57]
	v_add_f64 v[38:39], v[54:55], v[38:39]
	v_fma_f64 v[54:55], v[74:75], s[22:23], v[78:79]
	v_add_f64 v[44:45], v[96:97], v[44:45]
	v_fma_f64 v[96:97], v[72:73], s[24:25], -v[20:21]
	v_fma_f64 v[20:21], v[72:73], s[24:25], v[20:21]
	v_add_f64 v[40:41], v[52:53], v[40:41]
	v_fma_f64 v[52:53], v[72:73], s[22:23], v[76:77]
	v_mul_f64 v[76:77], v[92:93], s[48:49]
	v_add_f64 v[46:47], v[98:99], v[46:47]
	v_fma_f64 v[98:99], v[74:75], s[24:25], v[22:23]
	v_fma_f64 v[22:23], v[74:75], s[24:25], -v[22:23]
	v_add_f64 v[42:43], v[54:55], v[42:43]
	v_fma_f64 v[54:55], v[74:75], s[22:23], -v[78:79]
	v_mul_f64 v[78:79], v[94:95], s[48:49]
	v_add_f64 v[32:33], v[20:21], v[32:33]
	v_mul_f64 v[20:21], v[92:93], s[36:37]
	v_add_f64 v[52:53], v[52:53], v[84:85]
	v_fma_f64 v[84:85], v[72:73], s[16:17], -v[76:77]
	v_add_f64 v[34:35], v[22:23], v[34:35]
	v_mul_f64 v[22:23], v[94:95], s[36:37]
	v_add_f64 v[54:55], v[54:55], v[86:87]
	v_fma_f64 v[86:87], v[74:75], s[16:17], v[78:79]
	v_add_f64 v[56:57], v[96:97], v[56:57]
	v_fma_f64 v[96:97], v[72:73], s[38:39], -v[20:21]
	v_fma_f64 v[20:21], v[72:73], s[38:39], v[20:21]
	v_add_f64 v[80:81], v[84:85], v[80:81]
	v_add_f64 v[84:85], v[2:3], -v[6:7]
	v_add_f64 v[58:59], v[98:99], v[58:59]
	v_fma_f64 v[98:99], v[74:75], s[38:39], v[22:23]
	v_fma_f64 v[22:23], v[74:75], s[38:39], -v[22:23]
	v_add_f64 v[82:83], v[86:87], v[82:83]
	v_add_f64 v[86:87], v[0:1], -v[4:5]
	v_add_f64 v[88:89], v[96:97], v[88:89]
	v_add_f64 v[60:61], v[20:21], v[60:61]
	v_mul_f64 v[20:21], v[92:93], s[20:21]
	v_add_f64 v[96:97], v[0:1], v[4:5]
	v_mul_f64 v[0:1], v[84:85], s[36:37]
	v_add_f64 v[90:91], v[98:99], v[90:91]
	v_add_f64 v[62:63], v[22:23], v[62:63]
	v_mul_f64 v[22:23], v[94:95], s[20:21]
	v_add_f64 v[98:99], v[2:3], v[6:7]
	v_mul_f64 v[2:3], v[86:87], s[36:37]
	v_fma_f64 v[76:77], v[72:73], s[16:17], v[76:77]
	v_fma_f64 v[92:93], v[72:73], s[18:19], -v[20:21]
	v_fma_f64 v[4:5], v[72:73], s[18:19], v[20:21]
	v_fma_f64 v[20:21], v[96:97], s[38:39], -v[0:1]
	v_mul_f64 v[72:73], v[84:85], s[46:47]
	v_add_f64 v[66:67], v[102:103], v[66:67]
	v_fma_f64 v[78:79], v[74:75], s[16:17], -v[78:79]
	v_fma_f64 v[94:95], v[74:75], s[18:19], v[22:23]
	v_fma_f64 v[6:7], v[74:75], s[18:19], -v[22:23]
	v_fma_f64 v[22:23], v[98:99], s[38:39], v[2:3]
	v_mul_f64 v[74:75], v[86:87], s[46:47]
	v_add_f64 v[48:49], v[76:77], v[48:49]
	v_add_f64 v[64:65], v[92:93], v[64:65]
	v_fma_f64 v[76:77], v[96:97], s[38:39], v[0:1]
	v_add_f64 v[92:93], v[4:5], v[8:9]
	v_add_f64 v[0:1], v[20:21], v[28:29]
	v_fma_f64 v[4:5], v[96:97], s[22:23], -v[72:73]
	v_mul_f64 v[20:21], v[84:85], s[34:35]
	v_add_f64 v[50:51], v[78:79], v[50:51]
	v_add_f64 v[66:67], v[94:95], v[66:67]
	v_fma_f64 v[78:79], v[98:99], s[38:39], -v[2:3]
	v_add_f64 v[94:95], v[6:7], v[10:11]
	v_add_f64 v[2:3], v[22:23], v[30:31]
	v_fma_f64 v[6:7], v[98:99], s[22:23], v[74:75]
	v_mul_f64 v[22:23], v[86:87], s[34:35]
	v_add_f64 v[8:9], v[76:77], v[12:13]
	v_fma_f64 v[12:13], v[96:97], s[22:23], v[72:73]
	v_add_f64 v[4:5], v[4:5], v[44:45]
	v_fma_f64 v[44:45], v[96:97], s[30:31], -v[20:21]
	v_add_f64 v[10:11], v[78:79], v[14:15]
	v_fma_f64 v[14:15], v[98:99], s[22:23], -v[74:75]
	v_add_f64 v[6:7], v[6:7], v[46:47]
	v_fma_f64 v[46:47], v[98:99], s[30:31], v[22:23]
	v_mul_f64 v[28:29], v[84:85], s[48:49]
	v_mul_f64 v[30:31], v[86:87], s[48:49]
	v_add_f64 v[12:13], v[12:13], v[16:17]
	v_fma_f64 v[20:21], v[96:97], s[30:31], v[20:21]
	v_add_f64 v[16:17], v[44:45], v[24:25]
	v_mul_f64 v[24:25], v[84:85], s[26:27]
	v_add_f64 v[14:15], v[14:15], v[18:19]
	v_fma_f64 v[22:23], v[98:99], s[30:31], -v[22:23]
	v_add_f64 v[18:19], v[46:47], v[26:27]
	v_mul_f64 v[26:27], v[86:87], s[26:27]
	v_fma_f64 v[72:73], v[96:97], s[16:17], -v[28:29]
	v_fma_f64 v[74:75], v[98:99], s[16:17], v[30:31]
	v_add_f64 v[140:141], v[20:21], v[36:37]
	v_fma_f64 v[28:29], v[96:97], s[16:17], v[28:29]
	v_fma_f64 v[36:37], v[96:97], s[24:25], -v[24:25]
	v_mul_f64 v[44:45], v[84:85], s[42:43]
	v_add_f64 v[142:143], v[22:23], v[38:39]
	v_fma_f64 v[30:31], v[98:99], s[16:17], -v[30:31]
	v_fma_f64 v[38:39], v[98:99], s[24:25], v[26:27]
	v_mul_f64 v[46:47], v[86:87], s[42:43]
	v_add_f64 v[20:21], v[72:73], v[56:57]
	v_add_f64 v[22:23], v[74:75], v[58:59]
	v_fma_f64 v[56:57], v[96:97], s[24:25], v[24:25]
	v_fma_f64 v[58:59], v[98:99], s[24:25], -v[26:27]
	v_add_f64 v[24:25], v[28:29], v[32:33]
	v_add_f64 v[28:29], v[36:37], v[40:41]
	v_fma_f64 v[36:37], v[96:97], s[6:7], -v[44:45]
	v_fma_f64 v[40:41], v[96:97], s[6:7], v[44:45]
	v_mul_f64 v[44:45], v[84:85], s[20:21]
	v_add_f64 v[26:27], v[30:31], v[34:35]
	v_add_f64 v[30:31], v[38:39], v[42:43]
	v_fma_f64 v[38:39], v[98:99], s[6:7], v[46:47]
	v_fma_f64 v[42:43], v[98:99], s[6:7], -v[46:47]
	v_mul_f64 v[46:47], v[86:87], s[20:21]
	v_add_f64 v[32:33], v[56:57], v[52:53]
	v_add_f64 v[34:35], v[58:59], v[54:55]
	v_mul_f64 v[52:53], v[84:85], s[50:51]
	v_mul_f64 v[54:55], v[86:87], s[50:51]
	v_add_f64 v[40:41], v[40:41], v[60:61]
	v_fma_f64 v[60:61], v[96:97], s[18:19], v[44:45]
	v_fma_f64 v[56:57], v[96:97], s[18:19], -v[44:45]
	v_fma_f64 v[58:59], v[98:99], s[18:19], v[46:47]
	v_add_f64 v[42:43], v[42:43], v[62:63]
	v_fma_f64 v[62:63], v[98:99], s[18:19], -v[46:47]
	v_fma_f64 v[72:73], v[96:97], s[4:5], -v[52:53]
	v_fma_f64 v[74:75], v[98:99], s[4:5], v[54:55]
	v_fma_f64 v[76:77], v[96:97], s[4:5], v[52:53]
	v_fma_f64 v[78:79], v[98:99], s[4:5], -v[54:55]
	v_add_f64 v[36:37], v[36:37], v[88:89]
	v_add_f64 v[38:39], v[38:39], v[90:91]
	;; [unrolled: 1-line block ×3, first 2 shown]
	v_mul_lo_u16_e32 v60, 17, v180
	v_add_f64 v[44:45], v[56:57], v[80:81]
	v_add_f64 v[46:47], v[58:59], v[82:83]
	v_lshlrev_b32_e32 v214, 4, v60
	v_add_f64 v[50:51], v[62:63], v[50:51]
	v_add_f64 v[52:53], v[72:73], v[64:65]
	;; [unrolled: 1-line block ×5, first 2 shown]
	s_barrier
	ds_write_b128 v214, v[68:71]
	ds_write_b128 v214, v[0:3] offset:16
	ds_write_b128 v214, v[4:7] offset:32
	ds_write_b128 v214, v[16:19] offset:48
	ds_write_b128 v214, v[20:23] offset:64
	ds_write_b128 v214, v[28:31] offset:80
	ds_write_b128 v214, v[36:39] offset:96
	ds_write_b128 v214, v[44:47] offset:112
	ds_write_b128 v214, v[52:55] offset:128
	ds_write_b128 v214, v[56:59] offset:144
	ds_write_b128 v214, v[48:51] offset:160
	ds_write_b128 v214, v[40:43] offset:176
	ds_write_b128 v214, v[32:35] offset:192
	ds_write_b128 v214, v[24:27] offset:208
	ds_write_b128 v214, v[140:143] offset:224
	ds_write_b128 v214, v[12:15] offset:240
	ds_write_b128 v214, v[8:11] offset:256
	s_waitcnt lgkmcnt(0)
	s_barrier
	ds_read_b128 v[4:7], v212
	ds_read_b128 v[0:3], v212 offset:1904
	ds_read_b128 v[28:31], v212 offset:4624
	ds_read_b128 v[84:87], v212 offset:6528
	ds_read_b128 v[104:107], v212 offset:9248
	ds_read_b128 v[80:83], v212 offset:11152
	ds_read_b128 v[100:103], v212 offset:13872
	ds_read_b128 v[76:79], v212 offset:15776
	ds_read_b128 v[96:99], v212 offset:18496
	ds_read_b128 v[72:75], v212 offset:20400
	ds_read_b128 v[92:95], v212 offset:23120
	ds_read_b128 v[68:71], v212 offset:25024
	ds_read_b128 v[88:91], v212 offset:27744
	ds_read_b128 v[24:27], v212 offset:29648
                                        ; implicit-def: $vgpr16_vgpr17
                                        ; implicit-def: $vgpr20_vgpr21
	s_and_saveexec_b64 s[4:5], vcc
	s_cbranch_execz .LBB0_3
; %bb.2:
	ds_read_b128 v[140:143], v212 offset:3808
	ds_read_b128 v[12:15], v212 offset:8432
	;; [unrolled: 1-line block ×7, first 2 shown]
.LBB0_3:
	s_or_b64 exec, exec, s[4:5]
	s_movk_i32 s4, 0xf1
	v_mul_lo_u16_sdwa v32, v180, s4 dst_sel:DWORD dst_unused:UNUSED_PAD src0_sel:BYTE_0 src1_sel:DWORD
	v_lshrrev_b16_e32 v60, 12, v32
	v_mul_lo_u16_e32 v32, 17, v60
	v_sub_u16_e32 v32, v180, v32
	v_and_b32_e32 v62, 0xff, v32
	v_mul_u32_u24_e32 v32, 6, v62
	v_lshlrev_b32_e32 v34, 4, v32
	global_load_dwordx4 v[112:115], v34, s[14:15] offset:48
	global_load_dwordx4 v[124:127], v34, s[14:15] offset:32
	;; [unrolled: 1-line block ×3, first 2 shown]
	global_load_dwordx4 v[136:139], v34, s[14:15]
	global_load_dwordx4 v[120:123], v34, s[14:15] offset:80
	global_load_dwordx4 v[128:131], v34, s[14:15] offset:64
	s_mov_b32 s6, 0x37e14327
	s_mov_b32 s18, 0xe976ee23
	;; [unrolled: 1-line block ×18, first 2 shown]
	s_waitcnt vmcnt(2) lgkmcnt(11)
	v_mul_f64 v[32:33], v[30:31], v[138:139]
	v_fma_f64 v[36:37], v[28:29], v[136:137], -v[32:33]
	v_mul_f64 v[28:29], v[28:29], v[138:139]
	v_fma_f64 v[42:43], v[30:31], v[136:137], v[28:29]
	s_waitcnt lgkmcnt(9)
	v_mul_f64 v[28:29], v[106:107], v[134:135]
	v_fma_f64 v[38:39], v[104:105], v[132:133], -v[28:29]
	v_mul_f64 v[28:29], v[104:105], v[134:135]
	v_fma_f64 v[44:45], v[106:107], v[132:133], v[28:29]
	s_waitcnt lgkmcnt(7)
	v_mul_f64 v[28:29], v[102:103], v[126:127]
	v_fma_f64 v[40:41], v[100:101], v[124:125], -v[28:29]
	v_mul_f64 v[28:29], v[100:101], v[126:127]
	v_fma_f64 v[46:47], v[102:103], v[124:125], v[28:29]
	s_waitcnt lgkmcnt(5)
	v_mul_f64 v[28:29], v[98:99], v[114:115]
	v_fma_f64 v[48:49], v[96:97], v[112:113], -v[28:29]
	v_mul_f64 v[28:29], v[96:97], v[114:115]
	v_fma_f64 v[50:51], v[98:99], v[112:113], v[28:29]
	s_waitcnt vmcnt(0) lgkmcnt(3)
	v_mul_f64 v[28:29], v[94:95], v[130:131]
	v_fma_f64 v[52:53], v[92:93], v[128:129], -v[28:29]
	v_mul_f64 v[28:29], v[92:93], v[130:131]
	v_fma_f64 v[54:55], v[94:95], v[128:129], v[28:29]
	s_waitcnt lgkmcnt(1)
	v_mul_f64 v[28:29], v[90:91], v[122:123]
	v_fma_f64 v[56:57], v[88:89], v[120:121], -v[28:29]
	v_mul_f64 v[28:29], v[88:89], v[122:123]
	v_fma_f64 v[58:59], v[90:91], v[120:121], v[28:29]
	v_add_u16_e32 v28, 0x77, v180
	v_mul_lo_u16_sdwa v29, v28, s4 dst_sel:DWORD dst_unused:UNUSED_PAD src0_sel:BYTE_0 src1_sel:DWORD
	v_lshrrev_b16_e32 v61, 12, v29
	v_mul_lo_u16_e32 v29, 17, v61
	v_sub_u16_e32 v28, v28, v29
	v_and_b32_e32 v63, 0xff, v28
	v_mul_u32_u24_e32 v28, 6, v63
	v_lshlrev_b32_e32 v66, 4, v28
	global_load_dwordx4 v[100:103], v66, s[14:15] offset:48
	global_load_dwordx4 v[104:107], v66, s[14:15] offset:32
	;; [unrolled: 1-line block ×3, first 2 shown]
	global_load_dwordx4 v[116:119], v66, s[14:15]
	global_load_dwordx4 v[92:95], v66, s[14:15] offset:80
	global_load_dwordx4 v[96:99], v66, s[14:15] offset:64
	s_mov_b32 s4, 0x36b3c0b5
	s_mov_b32 s5, 0x3fac98ee
	s_waitcnt vmcnt(4)
	v_mul_f64 v[64:65], v[76:77], v[106:107]
	s_waitcnt vmcnt(3)
	v_mul_f64 v[32:33], v[80:81], v[110:111]
	;; [unrolled: 2-line block ×3, first 2 shown]
	v_mul_f64 v[28:29], v[86:87], v[118:119]
	v_fma_f64 v[154:155], v[78:79], v[104:105], v[64:65]
	v_mul_f64 v[64:65], v[74:75], v[102:103]
	v_fma_f64 v[34:35], v[86:87], v[116:117], v[30:31]
	;; [unrolled: 2-line block ×3, first 2 shown]
	v_mul_f64 v[32:33], v[78:79], v[106:107]
	v_fma_f64 v[28:29], v[84:85], v[116:117], -v[28:29]
	v_fma_f64 v[156:157], v[72:73], v[100:101], -v[64:65]
	v_mul_f64 v[64:65], v[72:73], v[102:103]
	v_fma_f64 v[30:31], v[80:81], v[108:109], -v[30:31]
	v_fma_f64 v[32:33], v[76:77], v[104:105], -v[32:33]
	v_fma_f64 v[158:159], v[74:75], v[100:101], v[64:65]
	s_waitcnt vmcnt(0)
	v_mul_f64 v[64:65], v[70:71], v[98:99]
	v_fma_f64 v[160:161], v[68:69], v[96:97], -v[64:65]
	v_mul_f64 v[64:65], v[68:69], v[98:99]
	v_fma_f64 v[162:163], v[70:71], v[96:97], v[64:65]
	s_waitcnt lgkmcnt(0)
	v_mul_f64 v[64:65], v[26:27], v[94:95]
	v_fma_f64 v[164:165], v[24:25], v[92:93], -v[64:65]
	v_mul_f64 v[24:25], v[24:25], v[94:95]
	v_fma_f64 v[24:25], v[26:27], v[92:93], v[24:25]
	v_add_u16_e32 v26, 0xee, v180
	v_mul_u32_u24_e32 v27, 0xf0f1, v26
	v_lshrrev_b32_e32 v27, 20, v27
	buffer_store_dword v27, off, s[60:63], 0 offset:348 ; 4-byte Folded Spill
	v_mul_lo_u16_e32 v27, 17, v27
	v_sub_u16_e32 v26, v26, v27
	buffer_store_dword v26, off, s[60:63], 0 offset:352 ; 4-byte Folded Spill
	v_mul_lo_u16_e32 v26, 6, v26
	v_lshlrev_b32_e32 v64, 4, v26
	global_load_dwordx4 v[65:68], v64, s[14:15] offset:48
	global_load_dwordx4 v[69:72], v64, s[14:15] offset:32
	;; [unrolled: 1-line block ×3, first 2 shown]
	global_load_dwordx4 v[80:83], v64, s[14:15]
	s_waitcnt vmcnt(0)
	v_mul_f64 v[26:27], v[14:15], v[82:83]
	v_fma_f64 v[26:27], v[12:13], v[80:81], -v[26:27]
	v_mul_f64 v[12:13], v[12:13], v[82:83]
	v_fma_f64 v[14:15], v[14:15], v[80:81], v[12:13]
	v_mul_f64 v[12:13], v[10:11], v[75:76]
	v_fma_f64 v[12:13], v[8:9], v[73:74], -v[12:13]
	v_mul_f64 v[8:9], v[8:9], v[75:76]
	buffer_store_dword v73, off, s[60:63], 0 offset:420 ; 4-byte Folded Spill
	s_nop 0
	buffer_store_dword v74, off, s[60:63], 0 offset:424 ; 4-byte Folded Spill
	buffer_store_dword v75, off, s[60:63], 0 offset:428 ; 4-byte Folded Spill
	buffer_store_dword v76, off, s[60:63], 0 offset:432 ; 4-byte Folded Spill
	v_fma_f64 v[10:11], v[10:11], v[73:74], v[8:9]
	v_mul_f64 v[8:9], v[18:19], v[71:72]
	v_fma_f64 v[8:9], v[16:17], v[69:70], -v[8:9]
	v_mul_f64 v[16:17], v[16:17], v[71:72]
	buffer_store_dword v69, off, s[60:63], 0 offset:404 ; 4-byte Folded Spill
	s_nop 0
	buffer_store_dword v70, off, s[60:63], 0 offset:408 ; 4-byte Folded Spill
	buffer_store_dword v71, off, s[60:63], 0 offset:412 ; 4-byte Folded Spill
	buffer_store_dword v72, off, s[60:63], 0 offset:416 ; 4-byte Folded Spill
	;; [unrolled: 9-line block ×3, first 2 shown]
	global_load_dwordx4 v[84:87], v64, s[14:15] offset:80
	global_load_dwordx4 v[88:91], v64, s[14:15] offset:64
	v_fma_f64 v[20:21], v[22:23], v[65:66], v[20:21]
	v_add_f64 v[64:65], v[42:43], v[58:59]
	v_add_f64 v[42:43], v[42:43], -v[58:59]
	v_add_f64 v[58:59], v[44:45], v[54:55]
	s_waitcnt vmcnt(0)
	v_mul_f64 v[22:23], v[146:147], v[90:91]
	v_add_f64 v[44:45], v[44:45], -v[54:55]
	v_add_f64 v[54:55], v[46:47], v[50:51]
	v_add_f64 v[46:47], v[50:51], -v[46:47]
	v_add_f64 v[50:51], v[58:59], v[64:65]
	v_fma_f64 v[166:167], v[144:145], v[88:89], -v[22:23]
	v_mul_f64 v[22:23], v[144:145], v[90:91]
	v_add_f64 v[144:145], v[58:59], -v[64:65]
	v_add_f64 v[64:65], v[64:65], -v[54:55]
	v_add_f64 v[58:59], v[54:55], -v[58:59]
	v_add_f64 v[174:175], v[46:47], -v[44:45]
	v_add_f64 v[50:51], v[54:55], v[50:51]
	v_fma_f64 v[168:169], v[146:147], v[88:89], v[22:23]
	v_mul_f64 v[22:23], v[150:151], v[86:87]
	v_mul_f64 v[54:55], v[58:59], s[4:5]
	v_fma_f64 v[170:171], v[148:149], v[84:85], -v[22:23]
	v_mul_f64 v[22:23], v[148:149], v[86:87]
	v_add_f64 v[148:149], v[46:47], v[44:45]
	v_add_f64 v[44:45], v[44:45], -v[42:43]
	v_add_f64 v[46:47], v[42:43], -v[46:47]
	v_fma_f64 v[54:55], v[144:145], s[24:25], -v[54:55]
	v_fma_f64 v[172:173], v[150:151], v[84:85], v[22:23]
	v_add_f64 v[22:23], v[36:37], v[56:57]
	v_add_f64 v[36:37], v[36:37], -v[56:57]
	v_add_f64 v[56:57], v[38:39], v[52:53]
	v_add_f64 v[38:39], v[38:39], -v[52:53]
	;; [unrolled: 2-line block ×3, first 2 shown]
	v_add_f64 v[42:43], v[148:149], v[42:43]
	v_add_f64 v[48:49], v[56:57], v[22:23]
	v_add_f64 v[66:67], v[56:57], -v[22:23]
	v_add_f64 v[22:23], v[22:23], -v[52:53]
	;; [unrolled: 1-line block ×3, first 2 shown]
	v_add_f64 v[146:147], v[40:41], v[38:39]
	v_add_f64 v[150:151], v[40:41], -v[38:39]
	v_add_f64 v[176:177], v[38:39], -v[36:37]
	;; [unrolled: 1-line block ×3, first 2 shown]
	v_add_f64 v[48:49], v[52:53], v[48:49]
	v_add_f64 v[38:39], v[6:7], v[50:51]
	v_mul_f64 v[6:7], v[64:65], s[6:7]
	v_add_f64 v[52:53], v[146:147], v[36:37]
	v_mul_f64 v[64:65], v[150:151], s[18:19]
	v_mul_f64 v[146:147], v[174:175], s[18:19]
	;; [unrolled: 1-line block ×3, first 2 shown]
	v_add_f64 v[36:37], v[4:5], v[48:49]
	v_mul_f64 v[4:5], v[22:23], s[6:7]
	v_mul_f64 v[22:23], v[56:57], s[4:5]
	;; [unrolled: 1-line block ×3, first 2 shown]
	v_fma_f64 v[50:51], v[50:51], s[22:23], v[38:39]
	v_fma_f64 v[58:59], v[58:59], s[4:5], v[6:7]
	v_fma_f64 v[6:7], v[144:145], s[26:27], -v[6:7]
	v_fma_f64 v[144:145], v[46:47], s[28:29], v[146:147]
	v_fma_f64 v[48:49], v[48:49], s[22:23], v[36:37]
	;; [unrolled: 1-line block ×3, first 2 shown]
	v_fma_f64 v[22:23], v[66:67], s[24:25], -v[22:23]
	v_fma_f64 v[4:5], v[66:67], s[26:27], -v[4:5]
	v_fma_f64 v[66:67], v[40:41], s[28:29], v[64:65]
	v_fma_f64 v[64:65], v[176:177], s[16:17], -v[64:65]
	v_fma_f64 v[44:45], v[44:45], s[16:17], -v[146:147]
	;; [unrolled: 1-line block ×4, first 2 shown]
	v_add_f64 v[146:147], v[56:57], v[48:49]
	v_add_f64 v[148:149], v[58:59], v[50:51]
	;; [unrolled: 1-line block ×6, first 2 shown]
	v_fma_f64 v[56:57], v[52:53], s[20:21], v[64:65]
	v_fma_f64 v[58:59], v[42:43], s[20:21], v[44:45]
	;; [unrolled: 1-line block ×6, first 2 shown]
	v_add_f64 v[50:51], v[56:57], v[54:55]
	v_add_f64 v[48:49], v[22:23], -v[58:59]
	v_add_f64 v[46:47], v[6:7], -v[64:65]
	v_add_f64 v[44:45], v[150:151], v[4:5]
	v_add_f64 v[52:53], v[58:59], v[22:23]
	v_add_f64 v[54:55], v[54:55], -v[56:57]
	v_add_f64 v[56:57], v[4:5], -v[150:151]
	v_add_f64 v[58:59], v[64:65], v[6:7]
	v_add_f64 v[4:5], v[28:29], v[164:165]
	v_add_f64 v[6:7], v[34:35], v[24:25]
	v_add_f64 v[22:23], v[28:29], -v[164:165]
	v_add_f64 v[24:25], v[34:35], -v[24:25]
	v_add_f64 v[28:29], v[30:31], v[160:161]
	v_add_f64 v[34:35], v[152:153], v[162:163]
	v_add_f64 v[40:41], v[144:145], v[146:147]
	v_add_f64 v[42:43], v[148:149], -v[66:67]
	v_add_f64 v[64:65], v[146:147], -v[144:145]
	v_add_f64 v[66:67], v[66:67], v[148:149]
	v_add_f64 v[30:31], v[30:31], -v[160:161]
	v_add_f64 v[144:145], v[152:153], -v[162:163]
	v_add_f64 v[146:147], v[32:33], v[156:157]
	v_add_f64 v[148:149], v[154:155], v[158:159]
	v_add_f64 v[32:33], v[156:157], -v[32:33]
	v_add_f64 v[150:151], v[158:159], -v[154:155]
	v_add_f64 v[152:153], v[28:29], v[4:5]
	v_add_f64 v[154:155], v[34:35], v[6:7]
	v_add_f64 v[156:157], v[28:29], -v[4:5]
	v_add_f64 v[158:159], v[34:35], -v[6:7]
	;; [unrolled: 1-line block ×6, first 2 shown]
	v_add_f64 v[160:161], v[32:33], v[30:31]
	v_add_f64 v[162:163], v[150:151], v[144:145]
	v_add_f64 v[164:165], v[32:33], -v[30:31]
	v_add_f64 v[174:175], v[150:151], -v[144:145]
	;; [unrolled: 1-line block ×4, first 2 shown]
	v_add_f64 v[146:147], v[146:147], v[152:153]
	v_add_f64 v[148:149], v[148:149], v[154:155]
	v_add_f64 v[32:33], v[22:23], -v[32:33]
	v_add_f64 v[150:151], v[24:25], -v[150:151]
	v_add_f64 v[152:153], v[160:161], v[22:23]
	v_add_f64 v[154:155], v[162:163], v[24:25]
	v_mul_f64 v[160:161], v[164:165], s[18:19]
	v_mul_f64 v[162:163], v[174:175], s[18:19]
	v_add_f64 v[22:23], v[0:1], v[146:147]
	v_add_f64 v[24:25], v[2:3], v[148:149]
	v_mul_f64 v[0:1], v[4:5], s[6:7]
	v_mul_f64 v[2:3], v[6:7], s[6:7]
	;; [unrolled: 1-line block ×6, first 2 shown]
	v_fma_f64 v[146:147], v[146:147], s[22:23], v[22:23]
	v_fma_f64 v[148:149], v[148:149], s[22:23], v[24:25]
	;; [unrolled: 1-line block ×4, first 2 shown]
	v_fma_f64 v[4:5], v[156:157], s[24:25], -v[4:5]
	v_fma_f64 v[6:7], v[158:159], s[24:25], -v[6:7]
	;; [unrolled: 1-line block ×4, first 2 shown]
	v_fma_f64 v[156:157], v[32:33], s[28:29], v[160:161]
	v_fma_f64 v[158:159], v[150:151], s[28:29], v[162:163]
	v_fma_f64 v[30:31], v[30:31], s[16:17], -v[160:161]
	v_fma_f64 v[144:145], v[144:145], s[16:17], -v[162:163]
	;; [unrolled: 1-line block ×4, first 2 shown]
	v_add_f64 v[162:163], v[34:35], v[148:149]
	v_add_f64 v[4:5], v[4:5], v[146:147]
	;; [unrolled: 1-line block ×5, first 2 shown]
	v_fma_f64 v[164:165], v[152:153], s[20:21], v[156:157]
	v_fma_f64 v[156:157], v[154:155], s[20:21], v[158:159]
	v_fma_f64 v[158:159], v[152:153], s[20:21], v[30:31]
	v_fma_f64 v[148:149], v[154:155], s[20:21], v[144:145]
	v_fma_f64 v[174:175], v[152:153], s[20:21], v[32:33]
	v_fma_f64 v[152:153], v[154:155], s[20:21], v[150:151]
	v_add_f64 v[160:161], v[28:29], v[146:147]
	v_add_f64 v[30:31], v[162:163], -v[164:165]
	v_add_f64 v[146:147], v[158:159], v[6:7]
	v_add_f64 v[144:145], v[4:5], -v[148:149]
	v_add_f64 v[34:35], v[2:3], -v[174:175]
	v_add_f64 v[32:33], v[152:153], v[0:1]
	v_add_f64 v[148:149], v[148:149], v[4:5]
	v_add_f64 v[150:151], v[6:7], -v[158:159]
	v_add_f64 v[152:153], v[0:1], -v[152:153]
	v_add_f64 v[154:155], v[174:175], v[2:3]
	v_add_f64 v[0:1], v[26:27], v[170:171]
	;; [unrolled: 1-line block ×3, first 2 shown]
	v_add_f64 v[4:5], v[26:27], -v[170:171]
	v_add_f64 v[6:7], v[14:15], -v[172:173]
	v_add_f64 v[14:15], v[12:13], v[166:167]
	v_add_f64 v[26:27], v[10:11], v[168:169]
	;; [unrolled: 1-line block ×3, first 2 shown]
	v_add_f64 v[156:157], v[160:161], -v[156:157]
	v_add_f64 v[158:159], v[164:165], v[162:163]
	v_add_f64 v[12:13], v[12:13], -v[166:167]
	v_add_f64 v[10:11], v[10:11], -v[168:169]
	v_add_f64 v[160:161], v[8:9], v[18:19]
	v_add_f64 v[162:163], v[16:17], v[20:21]
	v_add_f64 v[8:9], v[18:19], -v[8:9]
	v_add_f64 v[16:17], v[20:21], -v[16:17]
	v_add_f64 v[18:19], v[14:15], v[0:1]
	v_add_f64 v[20:21], v[26:27], v[2:3]
	v_add_f64 v[164:165], v[14:15], -v[0:1]
	v_add_f64 v[166:167], v[26:27], -v[2:3]
	;; [unrolled: 1-line block ×6, first 2 shown]
	v_add_f64 v[0:1], v[8:9], v[12:13]
	v_add_f64 v[2:3], v[16:17], v[10:11]
	v_add_f64 v[172:173], v[8:9], -v[12:13]
	v_add_f64 v[174:175], v[16:17], -v[10:11]
	v_add_f64 v[18:19], v[160:161], v[18:19]
	v_add_f64 v[20:21], v[162:163], v[20:21]
	v_add_f64 v[8:9], v[4:5], -v[8:9]
	v_add_f64 v[16:17], v[6:7], -v[16:17]
	;; [unrolled: 1-line block ×4, first 2 shown]
	v_add_f64 v[160:161], v[0:1], v[4:5]
	v_add_f64 v[162:163], v[2:3], v[6:7]
	;; [unrolled: 1-line block ×4, first 2 shown]
	v_mul_f64 v[4:5], v[168:169], s[6:7]
	v_mul_f64 v[6:7], v[170:171], s[6:7]
	;; [unrolled: 1-line block ×7, first 2 shown]
	v_fma_f64 v[18:19], v[18:19], s[22:23], v[0:1]
	v_fma_f64 v[20:21], v[20:21], s[22:23], v[2:3]
	;; [unrolled: 1-line block ×4, first 2 shown]
	v_fma_f64 v[140:141], v[164:165], s[24:25], -v[140:141]
	v_fma_f64 v[142:143], v[166:167], s[24:25], -v[142:143]
	v_fma_f64 v[166:167], v[166:167], s[26:27], -v[6:7]
	v_fma_f64 v[176:177], v[8:9], s[28:29], v[168:169]
	v_fma_f64 v[178:179], v[16:17], s[28:29], v[170:171]
	v_fma_f64 v[168:169], v[12:13], s[16:17], -v[168:169]
	v_fma_f64 v[170:171], v[10:11], s[16:17], -v[170:171]
	;; [unrolled: 1-line block ×4, first 2 shown]
	v_add_f64 v[4:5], v[14:15], v[18:19]
	v_add_f64 v[8:9], v[26:27], v[20:21]
	;; [unrolled: 1-line block ×5, first 2 shown]
	v_fma_f64 v[20:21], v[160:161], s[20:21], v[168:169]
	v_fma_f64 v[142:143], v[162:163], s[20:21], v[170:171]
	v_mul_f64 v[174:175], v[10:11], s[16:17]
	v_add_f64 v[6:7], v[164:165], v[18:19]
	v_fma_f64 v[18:19], v[160:161], s[20:21], v[172:173]
	v_fma_f64 v[12:13], v[160:161], s[20:21], v[176:177]
	;; [unrolled: 1-line block ×3, first 2 shown]
	v_add_f64 v[70:71], v[20:21], v[140:141]
	v_add_f64 v[68:69], v[26:27], -v[142:143]
	v_fma_f64 v[16:17], v[16:17], s[30:31], -v[174:175]
	buffer_store_dword v68, off, s[60:63], 0 ; 4-byte Folded Spill
	s_nop 0
	buffer_store_dword v69, off, s[60:63], 0 offset:4 ; 4-byte Folded Spill
	buffer_store_dword v70, off, s[60:63], 0 offset:8 ; 4-byte Folded Spill
	;; [unrolled: 1-line block ×3, first 2 shown]
	v_add_f64 v[68:69], v[142:143], v[26:27]
	v_add_f64 v[70:71], v[140:141], -v[20:21]
	v_fma_f64 v[16:17], v[162:163], s[20:21], v[16:17]
	buffer_store_dword v68, off, s[60:63], 0 offset:16 ; 4-byte Folded Spill
	s_nop 0
	buffer_store_dword v69, off, s[60:63], 0 offset:20 ; 4-byte Folded Spill
	buffer_store_dword v70, off, s[60:63], 0 offset:24 ; 4-byte Folded Spill
	;; [unrolled: 1-line block ×3, first 2 shown]
	v_add_f64 v[68:69], v[6:7], -v[16:17]
	v_add_f64 v[70:71], v[18:19], v[14:15]
	buffer_store_dword v68, off, s[60:63], 0 offset:32 ; 4-byte Folded Spill
	s_nop 0
	buffer_store_dword v69, off, s[60:63], 0 offset:36 ; 4-byte Folded Spill
	buffer_store_dword v70, off, s[60:63], 0 offset:40 ; 4-byte Folded Spill
	;; [unrolled: 1-line block ×3, first 2 shown]
	v_add_f64 v[68:69], v[4:5], -v[10:11]
	v_add_f64 v[70:71], v[12:13], v[8:9]
	v_mul_u32_u24_e32 v20, 0x77, v60
	v_add_lshl_u32 v215, v20, v62, 4
	v_mul_u32_u24_e32 v20, 0x77, v61
	v_add_lshl_u32 v213, v20, v63, 4
	buffer_store_dword v68, off, s[60:63], 0 offset:48 ; 4-byte Folded Spill
	s_nop 0
	buffer_store_dword v69, off, s[60:63], 0 offset:52 ; 4-byte Folded Spill
	buffer_store_dword v70, off, s[60:63], 0 offset:56 ; 4-byte Folded Spill
	;; [unrolled: 1-line block ×3, first 2 shown]
	s_waitcnt vmcnt(0)
	s_barrier
	ds_write_b128 v215, v[36:39]
	ds_write_b128 v215, v[40:43] offset:272
	ds_write_b128 v215, v[44:47] offset:544
	;; [unrolled: 1-line block ×6, first 2 shown]
	ds_write_b128 v213, v[22:25]
	ds_write_b128 v213, v[28:31] offset:272
	ds_write_b128 v213, v[32:35] offset:544
	;; [unrolled: 1-line block ×6, first 2 shown]
	s_and_saveexec_b64 s[4:5], vcc
	s_cbranch_execz .LBB0_5
; %bb.4:
	v_add_f64 v[14:15], v[14:15], -v[18:19]
	v_add_f64 v[18:19], v[10:11], v[4:5]
	buffer_load_dword v4, off, s[60:63], 0 offset:348 ; 4-byte Folded Reload
	buffer_load_dword v5, off, s[60:63], 0 offset:352 ; 4-byte Folded Reload
	v_add_f64 v[20:21], v[8:9], -v[12:13]
	v_add_f64 v[12:13], v[16:17], v[6:7]
	s_movk_i32 s6, 0x77
	s_waitcnt vmcnt(0)
	v_mad_legacy_u16 v4, v4, s6, v5
	v_lshlrev_b32_e32 v4, 4, v4
	ds_write_b128 v4, v[0:3]
	ds_write_b128 v4, v[18:21] offset:272
	ds_write_b128 v4, v[12:15] offset:544
	buffer_load_dword v0, off, s[60:63], 0  ; 4-byte Folded Reload
	buffer_load_dword v1, off, s[60:63], 0 offset:4 ; 4-byte Folded Reload
	buffer_load_dword v2, off, s[60:63], 0 offset:8 ; 4-byte Folded Reload
	buffer_load_dword v3, off, s[60:63], 0 offset:12 ; 4-byte Folded Reload
	s_waitcnt vmcnt(0)
	ds_write_b128 v4, v[0:3] offset:816
	buffer_load_dword v0, off, s[60:63], 0 offset:16 ; 4-byte Folded Reload
	buffer_load_dword v1, off, s[60:63], 0 offset:20 ; 4-byte Folded Reload
	buffer_load_dword v2, off, s[60:63], 0 offset:24 ; 4-byte Folded Reload
	buffer_load_dword v3, off, s[60:63], 0 offset:28 ; 4-byte Folded Reload
	s_waitcnt vmcnt(0)
	ds_write_b128 v4, v[0:3] offset:1088
	buffer_load_dword v0, off, s[60:63], 0 offset:32 ; 4-byte Folded Reload
	;; [unrolled: 6-line block ×3, first 2 shown]
	buffer_load_dword v1, off, s[60:63], 0 offset:52 ; 4-byte Folded Reload
	buffer_load_dword v2, off, s[60:63], 0 offset:56 ; 4-byte Folded Reload
	;; [unrolled: 1-line block ×3, first 2 shown]
	s_waitcnt vmcnt(0)
	ds_write_b128 v4, v[0:3] offset:1632
.LBB0_5:
	s_or_b64 exec, exec, s[4:5]
	v_mov_b32_e32 v0, s13
	v_addc_co_u32_e64 v221, s[0:1], 0, v0, s[0:1]
	s_waitcnt lgkmcnt(0)
	s_barrier
	ds_read_b128 v[224:227], v212
	ds_read_b128 v[0:3], v212 offset:1904
	ds_read_b128 v[4:7], v212 offset:3808
	;; [unrolled: 1-line block ×16, first 2 shown]
	buffer_store_dword v180, off, s[60:63], 0 offset:72 ; 4-byte Folded Spill
	v_lshlrev_b32_e32 v68, 8, v180
	global_load_dwordx4 v[140:143], v68, s[14:15] offset:1680
	global_load_dwordx4 v[148:151], v68, s[14:15] offset:1664
	;; [unrolled: 1-line block ×8, first 2 shown]
	s_mov_b32 s24, 0x5d8e7cdc
	s_mov_b32 s25, 0xbfd71e95
	;; [unrolled: 1-line block ×43, first 2 shown]
	s_movk_i32 s0, 0x7e70
	s_waitcnt vmcnt(4) lgkmcnt(14)
	v_mul_f64 v[24:25], v[2:3], v[178:179]
	v_fma_f64 v[196:197], v[0:1], v[176:177], -v[24:25]
	v_mul_f64 v[0:1], v[0:1], v[178:179]
	v_fma_f64 v[0:1], v[2:3], v[176:177], v[0:1]
	v_mul_f64 v[2:3], v[6:7], v[174:175]
	v_fma_f64 v[246:247], v[4:5], v[172:173], -v[2:3]
	v_mul_f64 v[2:3], v[4:5], v[174:175]
	s_waitcnt vmcnt(3) lgkmcnt(8)
	v_mul_f64 v[4:5], v[32:33], v[146:147]
	v_fma_f64 v[244:245], v[6:7], v[172:173], v[2:3]
	v_mul_f64 v[2:3], v[10:11], v[150:151]
	v_fma_f64 v[69:70], v[34:35], v[144:145], v[4:5]
	v_fma_f64 v[238:239], v[8:9], v[148:149], -v[2:3]
	v_mul_f64 v[2:3], v[8:9], v[150:151]
	v_fma_f64 v[236:237], v[10:11], v[148:149], v[2:3]
	v_mul_f64 v[2:3], v[14:15], v[142:143]
	v_fma_f64 v[230:231], v[12:13], v[140:141], -v[2:3]
	v_mul_f64 v[2:3], v[12:13], v[142:143]
	v_fma_f64 v[228:229], v[14:15], v[140:141], v[2:3]
	s_waitcnt vmcnt(0)
	v_mul_f64 v[2:3], v[18:19], v[190:191]
	v_fma_f64 v[26:27], v[16:17], v[188:189], -v[2:3]
	v_mul_f64 v[2:3], v[16:17], v[190:191]
	v_fma_f64 v[24:25], v[18:19], v[188:189], v[2:3]
	v_mul_f64 v[2:3], v[22:23], v[158:159]
	v_fma_f64 v[18:19], v[20:21], v[156:157], -v[2:3]
	v_mul_f64 v[2:3], v[20:21], v[158:159]
	v_fma_f64 v[16:17], v[22:23], v[156:157], v[2:3]
	;; [unrolled: 4-line block ×3, first 2 shown]
	v_mul_f64 v[2:3], v[34:35], v[146:147]
	v_fma_f64 v[2:3], v[32:33], v[144:145], -v[2:3]
	buffer_store_dword v2, off, s[60:63], 0 offset:356 ; 4-byte Folded Spill
	s_nop 0
	buffer_store_dword v3, off, s[60:63], 0 offset:360 ; 4-byte Folded Spill
	buffer_store_dword v69, off, s[60:63], 0 offset:372 ; 4-byte Folded Spill
	s_nop 0
	buffer_store_dword v70, off, s[60:63], 0 offset:376 ; 4-byte Folded Spill
	global_load_dwordx4 v[160:163], v68, s[14:15] offset:1808
	global_load_dwordx4 v[164:167], v68, s[14:15] offset:1792
	;; [unrolled: 1-line block ×4, first 2 shown]
	s_waitcnt vmcnt(3) lgkmcnt(4)
	v_mul_f64 v[28:29], v[50:51], v[162:163]
	s_waitcnt vmcnt(2)
	v_mul_f64 v[20:21], v[46:47], v[166:167]
	s_waitcnt vmcnt(1)
	v_mul_f64 v[12:13], v[42:43], v[170:171]
	s_waitcnt vmcnt(0)
	v_mul_f64 v[4:5], v[38:39], v[206:207]
	v_fma_f64 v[30:31], v[48:49], v[160:161], -v[28:29]
	v_fma_f64 v[22:23], v[44:45], v[164:165], -v[20:21]
	;; [unrolled: 1-line block ×4, first 2 shown]
	v_mul_f64 v[4:5], v[36:37], v[206:207]
	v_add_f64 v[36:37], v[224:225], v[196:197]
	v_mul_f64 v[12:13], v[40:41], v[170:171]
	v_mul_f64 v[20:21], v[44:45], v[166:167]
	;; [unrolled: 1-line block ×3, first 2 shown]
	v_fma_f64 v[4:5], v[38:39], v[204:205], v[4:5]
	buffer_store_dword v4, off, s[60:63], 0 offset:380 ; 4-byte Folded Spill
	s_nop 0
	buffer_store_dword v5, off, s[60:63], 0 offset:384 ; 4-byte Folded Spill
	global_load_dwordx4 v[192:195], v68, s[14:15] offset:1872
	global_load_dwordx4 v[180:183], v68, s[14:15] offset:1856
	;; [unrolled: 1-line block ×4, first 2 shown]
	v_add_f64 v[38:39], v[226:227], v[0:1]
	v_add_f64 v[36:37], v[36:37], v[246:247]
	v_fma_f64 v[12:13], v[42:43], v[168:169], v[12:13]
	v_fma_f64 v[20:21], v[46:47], v[164:165], v[20:21]
	;; [unrolled: 1-line block ×3, first 2 shown]
	s_mov_b32 s14, 0x7c9e640b
	s_mov_b32 s15, 0xbfeca52d
	;; [unrolled: 1-line block ×3, first 2 shown]
	v_add_f64 v[38:39], v[38:39], v[244:245]
	v_add_f64 v[36:37], v[36:37], v[238:239]
	;; [unrolled: 1-line block ×16, first 2 shown]
	s_waitcnt vmcnt(3) lgkmcnt(0)
	v_mul_f64 v[34:35], v[64:65], v[194:195]
	v_add_f64 v[38:39], v[38:39], v[4:5]
	s_waitcnt vmcnt(0)
	v_mul_f64 v[32:33], v[54:55], v[218:219]
	v_add_f64 v[36:37], v[36:37], v[30:31]
	v_fma_f64 v[34:35], v[66:67], v[192:193], v[34:35]
	v_add_f64 v[38:39], v[38:39], v[12:13]
	v_fma_f64 v[234:235], v[52:53], v[216:217], -v[32:33]
	v_mul_f64 v[32:33], v[52:53], v[218:219]
	v_add_f64 v[252:253], v[0:1], v[34:35]
	v_add_f64 v[38:39], v[38:39], v[20:21]
	;; [unrolled: 1-line block ×3, first 2 shown]
	v_fma_f64 v[232:233], v[54:55], v[216:217], v[32:33]
	v_mul_f64 v[32:33], v[58:59], v[186:187]
	v_add_f64 v[38:39], v[38:39], v[28:29]
	v_fma_f64 v[242:243], v[56:57], v[184:185], -v[32:33]
	v_mul_f64 v[32:33], v[56:57], v[186:187]
	v_add_f64 v[38:39], v[38:39], v[232:233]
	v_add_f64 v[36:37], v[36:37], v[242:243]
	v_fma_f64 v[240:241], v[58:59], v[184:185], v[32:33]
	v_mul_f64 v[32:33], v[62:63], v[182:183]
	v_add_f64 v[38:39], v[38:39], v[240:241]
	v_fma_f64 v[250:251], v[60:61], v[180:181], -v[32:33]
	v_mul_f64 v[32:33], v[60:61], v[182:183]
	v_add_f64 v[36:37], v[36:37], v[250:251]
	v_fma_f64 v[248:249], v[62:63], v[180:181], v[32:33]
	v_mul_f64 v[32:33], v[66:67], v[194:195]
	v_add_f64 v[38:39], v[38:39], v[248:249]
	v_fma_f64 v[32:33], v[64:65], v[192:193], -v[32:33]
	v_add_f64 v[78:79], v[38:39], v[34:35]
	v_add_f64 v[34:35], v[0:1], -v[34:35]
	v_add_f64 v[254:255], v[196:197], v[32:33]
	v_add_f64 v[76:77], v[36:37], v[32:33]
	v_add_f64 v[32:33], v[196:197], -v[32:33]
	v_mul_f64 v[0:1], v[34:35], s[24:25]
	v_mul_f64 v[56:57], v[34:35], s[28:29]
	;; [unrolled: 1-line block ×7, first 2 shown]
	v_fma_f64 v[36:37], v[254:255], s[26:27], -v[0:1]
	v_fma_f64 v[0:1], v[254:255], s[26:27], v[0:1]
	v_fma_f64 v[54:55], v[254:255], s[30:31], -v[56:57]
	v_fma_f64 v[56:57], v[254:255], s[30:31], v[56:57]
	;; [unrolled: 2-line block ×3, first 2 shown]
	v_fma_f64 v[74:75], v[252:253], s[36:37], v[72:73]
	v_fma_f64 v[72:73], v[252:253], s[36:37], -v[72:73]
	v_add_f64 v[202:203], v[224:225], v[36:37]
	v_mul_f64 v[36:37], v[32:33], s[24:25]
	v_add_f64 v[50:51], v[224:225], v[0:1]
	v_add_f64 v[196:197], v[224:225], v[54:55]
	v_fma_f64 v[54:55], v[252:253], s[30:31], v[58:59]
	v_fma_f64 v[58:59], v[252:253], s[30:31], -v[58:59]
	v_add_f64 v[74:75], v[226:227], v[74:75]
	v_add_f64 v[72:73], v[226:227], v[72:73]
	;; [unrolled: 1-line block ×3, first 2 shown]
	v_fma_f64 v[0:1], v[252:253], s[26:27], -v[36:37]
	v_fma_f64 v[38:39], v[252:253], s[26:27], v[36:37]
	v_add_f64 v[70:71], v[224:225], v[70:71]
	v_add_f64 v[54:55], v[226:227], v[54:55]
	;; [unrolled: 1-line block ×5, first 2 shown]
	v_mul_f64 v[0:1], v[34:35], s[20:21]
	v_add_f64 v[48:49], v[226:227], v[38:39]
	v_fma_f64 v[36:37], v[254:255], s[22:23], -v[0:1]
	v_fma_f64 v[0:1], v[254:255], s[22:23], v[0:1]
	v_add_f64 v[198:199], v[224:225], v[36:37]
	v_mul_f64 v[36:37], v[32:33], s[20:21]
	v_add_f64 v[62:63], v[224:225], v[0:1]
	v_fma_f64 v[0:1], v[252:253], s[22:23], -v[36:37]
	v_fma_f64 v[38:39], v[252:253], s[22:23], v[36:37]
	v_add_f64 v[64:65], v[226:227], v[0:1]
	;; [unrolled: 5-line block ×3, first 2 shown]
	v_add_f64 v[38:39], v[224:225], v[0:1]
	v_fma_f64 v[0:1], v[252:253], s[12:13], -v[40:41]
	v_fma_f64 v[36:37], v[252:253], s[12:13], v[40:41]
	v_add_f64 v[40:41], v[226:227], v[0:1]
	v_mul_f64 v[0:1], v[34:35], s[4:5]
	v_add_f64 v[36:37], v[226:227], v[36:37]
	v_fma_f64 v[42:43], v[254:255], s[6:7], -v[0:1]
	v_fma_f64 v[0:1], v[254:255], s[6:7], v[0:1]
	v_add_f64 v[200:201], v[224:225], v[42:43]
	v_mul_f64 v[42:43], v[32:33], s[4:5]
	v_mul_f64 v[32:33], v[32:33], s[38:39]
	v_add_f64 v[0:1], v[224:225], v[0:1]
	v_fma_f64 v[44:45], v[252:253], s[6:7], v[42:43]
	v_fma_f64 v[42:43], v[252:253], s[6:7], -v[42:43]
	v_fma_f64 v[4:5], v[252:253], s[40:41], v[32:33]
	v_fma_f64 v[32:33], v[252:253], s[40:41], -v[32:33]
	v_add_f64 v[66:67], v[226:227], v[44:45]
	v_mul_f64 v[44:45], v[34:35], s[16:17]
	v_add_f64 v[222:223], v[226:227], v[42:43]
	v_mul_f64 v[34:35], v[34:35], s[38:39]
	v_add_f64 v[4:5], v[226:227], v[4:5]
	v_add_f64 v[32:33], v[226:227], v[32:33]
	v_fma_f64 v[42:43], v[254:255], s[18:19], -v[44:45]
	v_fma_f64 v[44:45], v[254:255], s[18:19], v[44:45]
	v_fma_f64 v[2:3], v[254:255], s[40:41], -v[34:35]
	v_fma_f64 v[34:35], v[254:255], s[40:41], v[34:35]
	v_add_f64 v[210:211], v[224:225], v[42:43]
	v_fma_f64 v[42:43], v[252:253], s[18:19], v[46:47]
	v_fma_f64 v[46:47], v[252:253], s[18:19], -v[46:47]
	v_add_f64 v[44:45], v[224:225], v[44:45]
	v_add_f64 v[2:3], v[224:225], v[2:3]
	;; [unrolled: 1-line block ×4, first 2 shown]
	v_add_f64 v[246:247], v[246:247], -v[250:251]
	v_add_f64 v[42:43], v[226:227], v[42:43]
	v_add_f64 v[46:47], v[226:227], v[46:47]
	;; [unrolled: 1-line block ×3, first 2 shown]
	v_add_f64 v[244:245], v[244:245], -v[248:249]
	v_mul_f64 v[248:249], v[244:245], s[20:21]
	v_fma_f64 v[250:251], v[224:225], s[22:23], -v[248:249]
	v_fma_f64 v[248:249], v[224:225], s[22:23], v[248:249]
	v_add_f64 v[202:203], v[250:251], v[202:203]
	v_mul_f64 v[250:251], v[246:247], s[20:21]
	v_add_f64 v[50:51], v[248:249], v[50:51]
	v_fma_f64 v[248:249], v[226:227], s[22:23], -v[250:251]
	v_fma_f64 v[252:253], v[226:227], s[22:23], v[250:251]
	v_add_f64 v[52:53], v[248:249], v[52:53]
	v_mul_f64 v[248:249], v[244:245], s[4:5]
	v_add_f64 v[48:49], v[252:253], v[48:49]
	;; [unrolled: 5-line block ×11, first 2 shown]
	v_fma_f64 v[248:249], v[226:227], s[18:19], -v[250:251]
	v_fma_f64 v[252:253], v[226:227], s[18:19], v[250:251]
	v_add_f64 v[58:59], v[248:249], v[58:59]
	v_mul_f64 v[248:249], v[244:245], s[44:45]
	v_mul_f64 v[244:245], v[244:245], s[48:49]
	v_add_f64 v[54:55], v[252:253], v[54:55]
	v_fma_f64 v[250:251], v[224:225], s[12:13], -v[248:249]
	v_fma_f64 v[248:249], v[224:225], s[12:13], v[248:249]
	v_add_f64 v[70:71], v[250:251], v[70:71]
	v_mul_f64 v[250:251], v[246:247], s[44:45]
	v_add_f64 v[68:69], v[248:249], v[68:69]
	v_mul_f64 v[246:247], v[246:247], s[48:49]
	v_fma_f64 v[248:249], v[226:227], s[12:13], -v[250:251]
	v_fma_f64 v[252:253], v[226:227], s[12:13], v[250:251]
	v_add_f64 v[72:73], v[248:249], v[72:73]
	v_fma_f64 v[248:249], v[224:225], s[26:27], -v[244:245]
	v_fma_f64 v[224:225], v[224:225], s[26:27], v[244:245]
	v_add_f64 v[74:75], v[252:253], v[74:75]
	v_add_f64 v[2:3], v[248:249], v[2:3]
	v_fma_f64 v[248:249], v[226:227], s[26:27], v[246:247]
	v_add_f64 v[34:35], v[224:225], v[34:35]
	v_fma_f64 v[224:225], v[226:227], s[26:27], -v[246:247]
	v_add_f64 v[226:227], v[236:237], v[240:241]
	v_add_f64 v[236:237], v[236:237], -v[240:241]
	v_add_f64 v[4:5], v[248:249], v[4:5]
	v_add_f64 v[32:33], v[224:225], v[32:33]
	;; [unrolled: 1-line block ×3, first 2 shown]
	v_mul_f64 v[240:241], v[236:237], s[14:15]
	v_add_f64 v[238:239], v[238:239], -v[242:243]
	v_fma_f64 v[242:243], v[224:225], s[12:13], -v[240:241]
	v_fma_f64 v[240:241], v[224:225], s[12:13], v[240:241]
	v_add_f64 v[202:203], v[242:243], v[202:203]
	v_mul_f64 v[242:243], v[238:239], s[14:15]
	v_add_f64 v[50:51], v[240:241], v[50:51]
	v_fma_f64 v[240:241], v[226:227], s[12:13], -v[242:243]
	v_fma_f64 v[244:245], v[226:227], s[12:13], v[242:243]
	v_add_f64 v[52:53], v[240:241], v[52:53]
	v_mul_f64 v[240:241], v[236:237], s[28:29]
	v_add_f64 v[48:49], v[244:245], v[48:49]
	;; [unrolled: 5-line block ×11, first 2 shown]
	v_fma_f64 v[240:241], v[226:227], s[26:27], -v[242:243]
	v_fma_f64 v[244:245], v[226:227], s[26:27], v[242:243]
	v_add_f64 v[58:59], v[240:241], v[58:59]
	v_mul_f64 v[240:241], v[236:237], s[4:5]
	v_mul_f64 v[236:237], v[236:237], s[34:35]
	v_add_f64 v[54:55], v[244:245], v[54:55]
	v_fma_f64 v[242:243], v[224:225], s[6:7], -v[240:241]
	v_fma_f64 v[240:241], v[224:225], s[6:7], v[240:241]
	v_add_f64 v[70:71], v[242:243], v[70:71]
	v_mul_f64 v[242:243], v[238:239], s[4:5]
	v_add_f64 v[68:69], v[240:241], v[68:69]
	v_mul_f64 v[238:239], v[238:239], s[34:35]
	v_fma_f64 v[240:241], v[226:227], s[6:7], -v[242:243]
	v_fma_f64 v[244:245], v[226:227], s[6:7], v[242:243]
	v_add_f64 v[72:73], v[240:241], v[72:73]
	v_fma_f64 v[240:241], v[224:225], s[36:37], -v[236:237]
	v_fma_f64 v[224:225], v[224:225], s[36:37], v[236:237]
	v_add_f64 v[74:75], v[244:245], v[74:75]
	v_add_f64 v[2:3], v[240:241], v[2:3]
	v_fma_f64 v[240:241], v[226:227], s[36:37], v[238:239]
	v_add_f64 v[34:35], v[224:225], v[34:35]
	v_fma_f64 v[224:225], v[226:227], s[36:37], -v[238:239]
	v_add_f64 v[226:227], v[228:229], v[232:233]
	v_add_f64 v[228:229], v[228:229], -v[232:233]
	v_add_f64 v[4:5], v[240:241], v[4:5]
	v_add_f64 v[32:33], v[224:225], v[32:33]
	;; [unrolled: 1-line block ×3, first 2 shown]
	v_mul_f64 v[232:233], v[228:229], s[4:5]
	v_add_f64 v[230:231], v[230:231], -v[234:235]
	v_fma_f64 v[234:235], v[224:225], s[6:7], -v[232:233]
	v_fma_f64 v[232:233], v[224:225], s[6:7], v[232:233]
	v_add_f64 v[202:203], v[234:235], v[202:203]
	v_mul_f64 v[234:235], v[230:231], s[4:5]
	v_add_f64 v[50:51], v[232:233], v[50:51]
	v_fma_f64 v[232:233], v[226:227], s[6:7], -v[234:235]
	v_fma_f64 v[236:237], v[226:227], s[6:7], v[234:235]
	v_add_f64 v[52:53], v[232:233], v[52:53]
	v_mul_f64 v[232:233], v[228:229], s[38:39]
	v_add_f64 v[48:49], v[236:237], v[48:49]
	;; [unrolled: 5-line block ×11, first 2 shown]
	v_fma_f64 v[232:233], v[226:227], s[36:37], -v[234:235]
	v_fma_f64 v[236:237], v[226:227], s[36:37], v[234:235]
	v_add_f64 v[58:59], v[232:233], v[58:59]
	v_mul_f64 v[232:233], v[228:229], s[54:55]
	v_mul_f64 v[228:229], v[228:229], s[50:51]
	v_add_f64 v[54:55], v[236:237], v[54:55]
	v_fma_f64 v[234:235], v[224:225], s[30:31], -v[232:233]
	v_fma_f64 v[232:233], v[224:225], s[30:31], v[232:233]
	v_add_f64 v[70:71], v[234:235], v[70:71]
	v_mul_f64 v[234:235], v[230:231], s[54:55]
	v_add_f64 v[68:69], v[232:233], v[68:69]
	v_mul_f64 v[230:231], v[230:231], s[50:51]
	v_fma_f64 v[232:233], v[226:227], s[30:31], -v[234:235]
	v_fma_f64 v[236:237], v[226:227], s[30:31], v[234:235]
	v_add_f64 v[72:73], v[232:233], v[72:73]
	v_fma_f64 v[232:233], v[224:225], s[22:23], -v[228:229]
	v_fma_f64 v[224:225], v[224:225], s[22:23], v[228:229]
	v_add_f64 v[74:75], v[236:237], v[74:75]
	v_add_f64 v[2:3], v[232:233], v[2:3]
	v_fma_f64 v[232:233], v[226:227], s[22:23], v[230:231]
	v_add_f64 v[34:35], v[224:225], v[34:35]
	v_fma_f64 v[224:225], v[226:227], s[22:23], -v[230:231]
	v_add_f64 v[226:227], v[24:25], v[28:29]
	v_add_f64 v[24:25], v[24:25], -v[28:29]
	v_add_f64 v[4:5], v[232:233], v[4:5]
	v_add_f64 v[32:33], v[224:225], v[32:33]
	;; [unrolled: 1-line block ×3, first 2 shown]
	v_mul_f64 v[28:29], v[24:25], s[16:17]
	v_add_f64 v[26:27], v[26:27], -v[30:31]
	v_fma_f64 v[30:31], v[224:225], s[18:19], -v[28:29]
	v_fma_f64 v[28:29], v[224:225], s[18:19], v[28:29]
	v_add_f64 v[30:31], v[30:31], v[202:203]
	v_mul_f64 v[202:203], v[26:27], s[16:17]
	v_add_f64 v[28:29], v[28:29], v[50:51]
	v_fma_f64 v[50:51], v[226:227], s[18:19], -v[202:203]
	v_fma_f64 v[228:229], v[226:227], s[18:19], v[202:203]
	v_add_f64 v[50:51], v[50:51], v[52:53]
	v_mul_f64 v[52:53], v[24:25], s[46:47]
	v_add_f64 v[48:49], v[228:229], v[48:49]
	;; [unrolled: 5-line block ×7, first 2 shown]
	v_fma_f64 v[228:229], v[226:227], s[12:13], v[208:209]
	v_fma_f64 v[64:65], v[226:227], s[12:13], -v[208:209]
	v_mul_f64 v[208:209], v[24:25], s[38:39]
	v_add_f64 v[66:67], v[228:229], v[66:67]
	v_add_f64 v[64:65], v[64:65], v[222:223]
	v_fma_f64 v[222:223], v[224:225], s[40:41], -v[208:209]
	v_fma_f64 v[208:209], v[224:225], s[40:41], v[208:209]
	v_add_f64 v[210:211], v[222:223], v[210:211]
	v_mul_f64 v[222:223], v[26:27], s[38:39]
	v_add_f64 v[44:45], v[208:209], v[44:45]
	v_fma_f64 v[208:209], v[226:227], s[40:41], -v[222:223]
	v_fma_f64 v[228:229], v[226:227], s[40:41], v[222:223]
	v_add_f64 v[46:47], v[208:209], v[46:47]
	v_mul_f64 v[208:209], v[24:25], s[56:57]
	;; [unrolled: 5-line block ×4, first 2 shown]
	v_mul_f64 v[24:25], v[24:25], s[28:29]
	v_add_f64 v[54:55], v[228:229], v[54:55]
	v_fma_f64 v[222:223], v[224:225], s[26:27], -v[208:209]
	v_fma_f64 v[208:209], v[224:225], s[26:27], v[208:209]
	v_add_f64 v[70:71], v[222:223], v[70:71]
	v_mul_f64 v[222:223], v[26:27], s[24:25]
	v_add_f64 v[68:69], v[208:209], v[68:69]
	v_mul_f64 v[26:27], v[26:27], s[28:29]
	v_fma_f64 v[208:209], v[226:227], s[26:27], -v[222:223]
	v_fma_f64 v[228:229], v[226:227], s[26:27], v[222:223]
	v_add_f64 v[72:73], v[208:209], v[72:73]
	v_fma_f64 v[208:209], v[224:225], s[30:31], -v[24:25]
	v_fma_f64 v[24:25], v[224:225], s[30:31], v[24:25]
	v_add_f64 v[74:75], v[228:229], v[74:75]
	v_add_f64 v[2:3], v[208:209], v[2:3]
	v_fma_f64 v[208:209], v[226:227], s[30:31], v[26:27]
	v_add_f64 v[24:25], v[24:25], v[34:35]
	v_fma_f64 v[26:27], v[226:227], s[30:31], -v[26:27]
	v_add_f64 v[34:35], v[16:17], v[20:21]
	v_add_f64 v[16:17], v[16:17], -v[20:21]
	v_add_f64 v[4:5], v[208:209], v[4:5]
	v_add_f64 v[26:27], v[26:27], v[32:33]
	;; [unrolled: 1-line block ×3, first 2 shown]
	v_mul_f64 v[20:21], v[16:17], s[28:29]
	v_add_f64 v[18:19], v[18:19], -v[22:23]
	v_fma_f64 v[22:23], v[32:33], s[30:31], -v[20:21]
	v_fma_f64 v[20:21], v[32:33], s[30:31], v[20:21]
	v_add_f64 v[22:23], v[22:23], v[30:31]
	v_mul_f64 v[30:31], v[18:19], s[28:29]
	v_add_f64 v[20:21], v[20:21], v[28:29]
	v_fma_f64 v[208:209], v[34:35], s[30:31], v[30:31]
	v_fma_f64 v[28:29], v[34:35], s[30:31], -v[30:31]
	v_mul_f64 v[30:31], v[16:17], s[42:43]
	v_add_f64 v[48:49], v[208:209], v[48:49]
	v_add_f64 v[28:29], v[28:29], v[50:51]
	v_fma_f64 v[50:51], v[32:33], s[18:19], -v[30:31]
	v_fma_f64 v[30:31], v[32:33], s[18:19], v[30:31]
	v_add_f64 v[50:51], v[50:51], v[198:199]
	v_mul_f64 v[198:199], v[18:19], s[42:43]
	v_add_f64 v[30:31], v[30:31], v[52:53]
	v_fma_f64 v[52:53], v[34:35], s[18:19], -v[198:199]
	v_fma_f64 v[208:209], v[34:35], s[18:19], v[198:199]
	v_add_f64 v[52:53], v[52:53], v[62:63]
	v_mul_f64 v[62:63], v[16:17], s[24:25]
	;; [unrolled: 5-line block ×6, first 2 shown]
	v_add_f64 v[66:67], v[208:209], v[66:67]
	v_mul_f64 v[208:209], v[18:19], s[56:57]
	v_fma_f64 v[202:203], v[32:33], s[6:7], -v[64:65]
	v_fma_f64 v[64:65], v[32:33], s[6:7], v[64:65]
	v_add_f64 v[202:203], v[202:203], v[210:211]
	v_add_f64 v[44:45], v[64:65], v[44:45]
	v_fma_f64 v[64:65], v[34:35], s[6:7], -v[208:209]
	v_fma_f64 v[210:211], v[34:35], s[6:7], v[208:209]
	v_add_f64 v[46:47], v[64:65], v[46:47]
	v_mul_f64 v[64:65], v[16:17], s[20:21]
	v_add_f64 v[42:43], v[210:211], v[42:43]
	v_fma_f64 v[208:209], v[32:33], s[22:23], -v[64:65]
	v_fma_f64 v[64:65], v[32:33], s[22:23], v[64:65]
	v_add_f64 v[196:197], v[208:209], v[196:197]
	v_mul_f64 v[208:209], v[18:19], s[20:21]
	;; [unrolled: 5-line block ×3, first 2 shown]
	v_mul_f64 v[16:17], v[16:17], s[44:45]
	v_add_f64 v[54:55], v[210:211], v[54:55]
	v_fma_f64 v[208:209], v[32:33], s[40:41], -v[64:65]
	v_fma_f64 v[64:65], v[32:33], s[40:41], v[64:65]
	v_add_f64 v[70:71], v[208:209], v[70:71]
	v_mul_f64 v[208:209], v[18:19], s[38:39]
	v_add_f64 v[64:65], v[64:65], v[68:69]
	v_mul_f64 v[18:19], v[18:19], s[44:45]
	v_fma_f64 v[68:69], v[34:35], s[40:41], -v[208:209]
	v_fma_f64 v[210:211], v[34:35], s[40:41], v[208:209]
	v_add_f64 v[68:69], v[68:69], v[72:73]
	v_fma_f64 v[72:73], v[32:33], s[12:13], -v[16:17]
	v_fma_f64 v[16:17], v[32:33], s[12:13], v[16:17]
	v_add_f64 v[74:75], v[210:211], v[74:75]
	v_add_f64 v[2:3], v[72:73], v[2:3]
	v_fma_f64 v[72:73], v[34:35], s[12:13], v[18:19]
	v_fma_f64 v[18:19], v[34:35], s[12:13], -v[18:19]
	v_add_f64 v[16:17], v[16:17], v[24:25]
	v_add_f64 v[24:25], v[10:11], v[14:15]
	v_add_f64 v[10:11], v[10:11], -v[14:15]
	v_add_f64 v[4:5], v[72:73], v[4:5]
	v_add_f64 v[18:19], v[18:19], v[26:27]
	;; [unrolled: 1-line block ×3, first 2 shown]
	v_add_f64 v[8:9], v[8:9], -v[12:13]
	v_mul_f64 v[34:35], v[10:11], s[44:45]
	v_mul_f64 v[12:13], v[8:9], s[34:35]
	v_fma_f64 v[14:15], v[24:25], s[36:37], -v[12:13]
	v_fma_f64 v[12:13], v[24:25], s[36:37], v[12:13]
	v_add_f64 v[14:15], v[14:15], v[22:23]
	v_mul_f64 v[22:23], v[10:11], s[34:35]
	v_add_f64 v[12:13], v[12:13], v[20:21]
	v_fma_f64 v[32:33], v[26:27], s[36:37], v[22:23]
	v_fma_f64 v[20:21], v[26:27], s[36:37], -v[22:23]
	v_mul_f64 v[22:23], v[8:9], s[44:45]
	v_add_f64 v[32:33], v[32:33], v[48:49]
	v_add_f64 v[20:21], v[20:21], v[28:29]
	v_fma_f64 v[28:29], v[24:25], s[12:13], -v[22:23]
	v_fma_f64 v[22:23], v[24:25], s[12:13], v[22:23]
	v_fma_f64 v[48:49], v[26:27], s[12:13], v[34:35]
	v_add_f64 v[28:29], v[28:29], v[50:51]
	v_add_f64 v[22:23], v[22:23], v[30:31]
	v_fma_f64 v[30:31], v[26:27], s[12:13], -v[34:35]
	v_mul_f64 v[34:35], v[8:9], s[4:5]
	v_add_f64 v[48:49], v[48:49], v[60:61]
	v_add_f64 v[30:31], v[30:31], v[52:53]
	v_fma_f64 v[50:51], v[24:25], s[6:7], -v[34:35]
	v_mul_f64 v[52:53], v[10:11], s[4:5]
	v_fma_f64 v[34:35], v[24:25], s[6:7], v[34:35]
	v_add_f64 v[50:51], v[50:51], v[198:199]
	v_fma_f64 v[60:61], v[26:27], s[6:7], v[52:53]
	v_add_f64 v[34:35], v[34:35], v[38:39]
	v_fma_f64 v[38:39], v[26:27], s[6:7], -v[52:53]
	v_add_f64 v[36:37], v[60:61], v[36:37]
	v_mul_f64 v[60:61], v[10:11], s[54:55]
	v_add_f64 v[38:39], v[38:39], v[40:41]
	v_mul_f64 v[40:41], v[8:9], s[54:55]
	v_fma_f64 v[72:73], v[26:27], s[30:31], v[60:61]
	v_fma_f64 v[52:53], v[24:25], s[30:31], -v[40:41]
	v_fma_f64 v[40:41], v[24:25], s[30:31], v[40:41]
	v_add_f64 v[66:67], v[72:73], v[66:67]
	v_mul_f64 v[72:73], v[10:11], s[24:25]
	v_add_f64 v[52:53], v[52:53], v[200:201]
	v_add_f64 v[40:41], v[40:41], v[0:1]
	v_fma_f64 v[0:1], v[26:27], s[30:31], -v[60:61]
	v_fma_f64 v[198:199], v[26:27], s[26:27], v[72:73]
	v_add_f64 v[60:61], v[0:1], v[62:63]
	v_mul_f64 v[0:1], v[8:9], s[24:25]
	v_add_f64 v[42:43], v[198:199], v[42:43]
	v_fma_f64 v[62:63], v[24:25], s[26:27], -v[0:1]
	v_fma_f64 v[0:1], v[24:25], s[26:27], v[0:1]
	v_add_f64 v[62:63], v[62:63], v[202:203]
	v_add_f64 v[44:45], v[0:1], v[44:45]
	v_fma_f64 v[0:1], v[26:27], s[26:27], -v[72:73]
	v_add_f64 v[46:47], v[0:1], v[46:47]
	v_mul_f64 v[0:1], v[8:9], s[38:39]
	v_fma_f64 v[72:73], v[24:25], s[40:41], -v[0:1]
	v_fma_f64 v[0:1], v[24:25], s[40:41], v[0:1]
	v_add_f64 v[72:73], v[72:73], v[196:197]
	v_mul_f64 v[196:197], v[10:11], s[38:39]
	v_add_f64 v[56:57], v[0:1], v[56:57]
	v_fma_f64 v[0:1], v[26:27], s[40:41], -v[196:197]
	v_fma_f64 v[198:199], v[26:27], s[40:41], v[196:197]
	v_add_f64 v[58:59], v[0:1], v[58:59]
	v_mul_f64 v[0:1], v[8:9], s[50:51]
	v_add_f64 v[54:55], v[198:199], v[54:55]
	v_fma_f64 v[196:197], v[24:25], s[22:23], -v[0:1]
	v_fma_f64 v[0:1], v[24:25], s[22:23], v[0:1]
	v_add_f64 v[70:71], v[196:197], v[70:71]
	v_mul_f64 v[196:197], v[10:11], s[50:51]
	v_add_f64 v[64:65], v[0:1], v[64:65]
	v_fma_f64 v[0:1], v[26:27], s[22:23], -v[196:197]
	v_fma_f64 v[198:199], v[26:27], s[22:23], v[196:197]
	v_add_f64 v[68:69], v[0:1], v[68:69]
	v_mul_f64 v[0:1], v[8:9], s[16:17]
	v_add_f64 v[74:75], v[198:199], v[74:75]
	v_fma_f64 v[8:9], v[24:25], s[18:19], -v[0:1]
	v_fma_f64 v[0:1], v[24:25], s[18:19], v[0:1]
	v_add_f64 v[196:197], v[8:9], v[2:3]
	v_mul_f64 v[2:3], v[10:11], s[16:17]
	v_add_f64 v[200:201], v[0:1], v[16:17]
	v_fma_f64 v[8:9], v[26:27], s[18:19], v[2:3]
	v_fma_f64 v[0:1], v[26:27], s[18:19], -v[2:3]
	buffer_load_dword v2, off, s[60:63], 0 offset:356 ; 4-byte Folded Reload
	buffer_load_dword v3, off, s[60:63], 0 offset:360 ; 4-byte Folded Reload
	v_add_f64 v[198:199], v[8:9], v[4:5]
	v_add_f64 v[202:203], v[0:1], v[18:19]
	buffer_load_dword v0, off, s[60:63], 0 offset:372 ; 4-byte Folded Reload
	buffer_load_dword v1, off, s[60:63], 0 offset:376 ; 4-byte Folded Reload
	buffer_load_dword v4, off, s[60:63], 0 offset:380 ; 4-byte Folded Reload
	buffer_load_dword v5, off, s[60:63], 0 offset:384 ; 4-byte Folded Reload
	s_waitcnt vmcnt(4)
	v_add_f64 v[208:209], v[2:3], v[6:7]
	v_add_f64 v[222:223], v[2:3], -v[6:7]
	s_waitcnt vmcnt(0)
	v_add_f64 v[224:225], v[0:1], -v[4:5]
	v_add_f64 v[210:211], v[0:1], v[4:5]
	v_mul_f64 v[6:7], v[222:223], s[38:39]
	v_mul_f64 v[4:5], v[224:225], s[38:39]
	v_fma_f64 v[2:3], v[210:211], s[40:41], v[6:7]
	v_fma_f64 v[6:7], v[210:211], s[40:41], -v[6:7]
	v_fma_f64 v[0:1], v[208:209], s[40:41], -v[4:5]
	v_fma_f64 v[4:5], v[208:209], s[40:41], v[4:5]
	v_add_f64 v[2:3], v[2:3], v[32:33]
	v_add_f64 v[6:7], v[6:7], v[20:21]
	v_mul_f64 v[20:21], v[224:225], s[34:35]
	v_add_f64 v[0:1], v[0:1], v[14:15]
	v_add_f64 v[4:5], v[4:5], v[12:13]
	v_mul_f64 v[12:13], v[224:225], s[48:49]
	v_mul_f64 v[14:15], v[222:223], s[48:49]
	v_fma_f64 v[16:17], v[208:209], s[36:37], -v[20:21]
	v_fma_f64 v[20:21], v[208:209], s[36:37], v[20:21]
	v_fma_f64 v[8:9], v[208:209], s[26:27], -v[12:13]
	v_fma_f64 v[12:13], v[208:209], s[26:27], v[12:13]
	v_fma_f64 v[10:11], v[210:211], s[26:27], v[14:15]
	v_add_f64 v[20:21], v[20:21], v[34:35]
	v_fma_f64 v[14:15], v[210:211], s[26:27], -v[14:15]
	v_add_f64 v[16:17], v[16:17], v[50:51]
	v_add_f64 v[8:9], v[8:9], v[28:29]
	;; [unrolled: 1-line block ×3, first 2 shown]
	v_mul_f64 v[22:23], v[222:223], s[34:35]
	v_mul_f64 v[28:29], v[224:225], s[50:51]
	v_add_f64 v[14:15], v[14:15], v[30:31]
	v_mul_f64 v[30:31], v[222:223], s[50:51]
	v_add_f64 v[10:11], v[10:11], v[48:49]
	v_fma_f64 v[18:19], v[210:211], s[36:37], v[22:23]
	v_fma_f64 v[22:23], v[210:211], s[36:37], -v[22:23]
	v_fma_f64 v[24:25], v[208:209], s[22:23], -v[28:29]
	v_fma_f64 v[26:27], v[210:211], s[22:23], v[30:31]
	v_fma_f64 v[28:29], v[208:209], s[22:23], v[28:29]
	v_fma_f64 v[30:31], v[210:211], s[22:23], -v[30:31]
	v_add_f64 v[18:19], v[18:19], v[36:37]
	v_add_f64 v[22:23], v[22:23], v[38:39]
	v_mul_f64 v[38:39], v[222:223], s[28:29]
	v_mul_f64 v[36:37], v[224:225], s[28:29]
	v_add_f64 v[24:25], v[24:25], v[52:53]
	v_mul_f64 v[52:53], v[224:225], s[16:17]
	v_add_f64 v[28:29], v[28:29], v[40:41]
	v_add_f64 v[30:31], v[30:31], v[60:61]
	v_mul_f64 v[60:61], v[224:225], s[56:57]
	v_add_f64 v[26:27], v[26:27], v[66:67]
	v_fma_f64 v[34:35], v[210:211], s[30:31], v[38:39]
	v_fma_f64 v[38:39], v[210:211], s[30:31], -v[38:39]
	v_fma_f64 v[32:33], v[208:209], s[30:31], -v[36:37]
	v_fma_f64 v[36:37], v[208:209], s[30:31], v[36:37]
	v_fma_f64 v[48:49], v[208:209], s[18:19], -v[52:53]
	v_fma_f64 v[52:53], v[208:209], s[18:19], v[52:53]
	v_add_f64 v[34:35], v[34:35], v[42:43]
	v_add_f64 v[38:39], v[38:39], v[46:47]
	v_mul_f64 v[46:47], v[222:223], s[44:45]
	v_add_f64 v[36:37], v[36:37], v[44:45]
	v_mul_f64 v[44:45], v[224:225], s[44:45]
	;; [unrolled: 2-line block ×3, first 2 shown]
	v_add_f64 v[48:49], v[48:49], v[70:71]
	v_add_f64 v[52:53], v[52:53], v[64:65]
	v_fma_f64 v[42:43], v[210:211], s[12:13], v[46:47]
	v_fma_f64 v[46:47], v[210:211], s[12:13], -v[46:47]
	v_fma_f64 v[40:41], v[208:209], s[12:13], -v[44:45]
	v_fma_f64 v[44:45], v[208:209], s[12:13], v[44:45]
	v_add_f64 v[42:43], v[42:43], v[54:55]
	v_mul_f64 v[54:55], v[222:223], s[16:17]
	v_add_f64 v[46:47], v[46:47], v[58:59]
	v_add_f64 v[44:45], v[44:45], v[56:57]
	v_fma_f64 v[56:57], v[208:209], s[6:7], -v[60:61]
	v_fma_f64 v[58:59], v[210:211], s[6:7], v[62:63]
	v_fma_f64 v[60:61], v[208:209], s[6:7], v[60:61]
	v_fma_f64 v[62:63], v[210:211], s[6:7], -v[62:63]
	v_add_f64 v[40:41], v[40:41], v[72:73]
	v_fma_f64 v[50:51], v[210:211], s[18:19], v[54:55]
	v_fma_f64 v[54:55], v[210:211], s[18:19], -v[54:55]
	v_add_f64 v[56:57], v[56:57], v[196:197]
	v_add_f64 v[58:59], v[58:59], v[198:199]
	;; [unrolled: 1-line block ×6, first 2 shown]
	ds_write_b128 v212, v[76:79]
	ds_write_b128 v212, v[0:3] offset:1904
	ds_write_b128 v212, v[8:11] offset:3808
	;; [unrolled: 1-line block ×16, first 2 shown]
	v_add_co_u32_e64 v12, s[0:1], s0, v220
	v_addc_co_u32_e64 v13, s[0:1], 0, v221, s[0:1]
	s_movk_i32 s0, 0x7000
	v_add_co_u32_e64 v4, s[0:1], s0, v220
	v_addc_co_u32_e64 v5, s[0:1], 0, v221, s[0:1]
	s_waitcnt lgkmcnt(0)
	s_barrier
	global_load_dwordx4 v[4:7], v[4:5], off offset:3696
	ds_read_b128 v[0:3], v212
	s_mov_b32 s0, 0x9000
	s_waitcnt vmcnt(0) lgkmcnt(0)
	v_mul_f64 v[8:9], v[2:3], v[6:7]
	v_fma_f64 v[8:9], v[0:1], v[4:5], -v[8:9]
	v_mul_f64 v[0:1], v[0:1], v[6:7]
	v_fma_f64 v[10:11], v[2:3], v[4:5], v[0:1]
	global_load_dwordx4 v[4:7], v[12:13], off offset:1904
	ds_read_b128 v[0:3], v212 offset:1904
	ds_write_b128 v212, v[8:11]
	s_waitcnt vmcnt(0) lgkmcnt(1)
	v_mul_f64 v[8:9], v[2:3], v[6:7]
	v_fma_f64 v[8:9], v[0:1], v[4:5], -v[8:9]
	v_mul_f64 v[0:1], v[0:1], v[6:7]
	v_fma_f64 v[10:11], v[2:3], v[4:5], v[0:1]
	global_load_dwordx4 v[4:7], v[12:13], off offset:3808
	ds_read_b128 v[0:3], v212 offset:3808
	v_add_co_u32_e64 v12, s[0:1], s0, v220
	v_addc_co_u32_e64 v13, s[0:1], 0, v221, s[0:1]
	s_mov_b32 s0, 0xa000
	ds_write_b128 v212, v[8:11] offset:1904
	s_waitcnt vmcnt(0) lgkmcnt(1)
	v_mul_f64 v[8:9], v[2:3], v[6:7]
	v_fma_f64 v[8:9], v[0:1], v[4:5], -v[8:9]
	v_mul_f64 v[0:1], v[0:1], v[6:7]
	v_fma_f64 v[10:11], v[2:3], v[4:5], v[0:1]
	global_load_dwordx4 v[4:7], v[12:13], off offset:1216
	ds_read_b128 v[0:3], v212 offset:5712
	ds_write_b128 v212, v[8:11] offset:3808
	s_waitcnt vmcnt(0) lgkmcnt(1)
	v_mul_f64 v[8:9], v[2:3], v[6:7]
	v_fma_f64 v[8:9], v[0:1], v[4:5], -v[8:9]
	v_mul_f64 v[0:1], v[0:1], v[6:7]
	v_fma_f64 v[10:11], v[2:3], v[4:5], v[0:1]
	global_load_dwordx4 v[4:7], v[12:13], off offset:3120
	ds_read_b128 v[0:3], v212 offset:7616
	v_add_co_u32_e64 v12, s[0:1], s0, v220
	v_addc_co_u32_e64 v13, s[0:1], 0, v221, s[0:1]
	s_mov_b32 s0, 0xb000
	ds_write_b128 v212, v[8:11] offset:5712
	s_waitcnt vmcnt(0) lgkmcnt(1)
	v_mul_f64 v[8:9], v[2:3], v[6:7]
	v_fma_f64 v[8:9], v[0:1], v[4:5], -v[8:9]
	v_mul_f64 v[0:1], v[0:1], v[6:7]
	v_fma_f64 v[10:11], v[2:3], v[4:5], v[0:1]
	global_load_dwordx4 v[4:7], v[12:13], off offset:928
	ds_read_b128 v[0:3], v212 offset:9520
	ds_write_b128 v212, v[8:11] offset:7616
	;; [unrolled: 19-line block ×5, first 2 shown]
	s_waitcnt vmcnt(0) lgkmcnt(1)
	v_mul_f64 v[8:9], v[2:3], v[6:7]
	v_fma_f64 v[8:9], v[0:1], v[4:5], -v[8:9]
	v_mul_f64 v[0:1], v[0:1], v[6:7]
	v_fma_f64 v[10:11], v[2:3], v[4:5], v[0:1]
	global_load_dwordx4 v[4:7], v[12:13], off offset:1968
	ds_read_b128 v[0:3], v212 offset:22848
	ds_write_b128 v212, v[8:11] offset:20944
	s_waitcnt vmcnt(0) lgkmcnt(1)
	v_mul_f64 v[8:9], v[2:3], v[6:7]
	v_fma_f64 v[8:9], v[0:1], v[4:5], -v[8:9]
	v_mul_f64 v[0:1], v[0:1], v[6:7]
	v_fma_f64 v[10:11], v[2:3], v[4:5], v[0:1]
	global_load_dwordx4 v[4:7], v[12:13], off offset:3872
	ds_read_b128 v[0:3], v212 offset:24752
	v_add_co_u32_e64 v12, s[0:1], s0, v220
	v_addc_co_u32_e64 v13, s[0:1], 0, v221, s[0:1]
	s_mov_b32 s0, 0xf000
	ds_write_b128 v212, v[8:11] offset:22848
	s_waitcnt vmcnt(0) lgkmcnt(1)
	v_mul_f64 v[8:9], v[2:3], v[6:7]
	v_fma_f64 v[8:9], v[0:1], v[4:5], -v[8:9]
	v_mul_f64 v[0:1], v[0:1], v[6:7]
	v_fma_f64 v[10:11], v[2:3], v[4:5], v[0:1]
	global_load_dwordx4 v[4:7], v[12:13], off offset:1680
	ds_read_b128 v[0:3], v212 offset:26656
	ds_write_b128 v212, v[8:11] offset:24752
	s_waitcnt vmcnt(0) lgkmcnt(1)
	v_mul_f64 v[8:9], v[2:3], v[6:7]
	v_fma_f64 v[8:9], v[0:1], v[4:5], -v[8:9]
	v_mul_f64 v[0:1], v[0:1], v[6:7]
	v_fma_f64 v[10:11], v[2:3], v[4:5], v[0:1]
	global_load_dwordx4 v[4:7], v[12:13], off offset:3584
	ds_read_b128 v[0:3], v212 offset:28560
	ds_write_b128 v212, v[8:11] offset:26656
	s_waitcnt vmcnt(0) lgkmcnt(1)
	v_mul_f64 v[8:9], v[2:3], v[6:7]
	v_fma_f64 v[8:9], v[0:1], v[4:5], -v[8:9]
	v_mul_f64 v[0:1], v[0:1], v[6:7]
	v_fma_f64 v[10:11], v[2:3], v[4:5], v[0:1]
	v_add_co_u32_e64 v4, s[0:1], s0, v220
	v_addc_co_u32_e64 v5, s[0:1], 0, v221, s[0:1]
	global_load_dwordx4 v[4:7], v[4:5], off offset:1392
	ds_read_b128 v[0:3], v212 offset:30464
	ds_write_b128 v212, v[8:11] offset:28560
	s_waitcnt vmcnt(0) lgkmcnt(1)
	v_mul_f64 v[8:9], v[2:3], v[6:7]
	v_fma_f64 v[8:9], v[0:1], v[4:5], -v[8:9]
	v_mul_f64 v[0:1], v[0:1], v[6:7]
	v_fma_f64 v[10:11], v[2:3], v[4:5], v[0:1]
	ds_write_b128 v212, v[8:11] offset:30464
	s_waitcnt lgkmcnt(0)
	s_barrier
	ds_read_b128 v[24:27], v212
	ds_read_b128 v[28:31], v212 offset:1904
	ds_read_b128 v[16:19], v212 offset:3808
	ds_read_b128 v[8:11], v212 offset:5712
	ds_read_b128 v[0:3], v212 offset:7616
	ds_read_b128 v[248:251], v212 offset:9520
	ds_read_b128 v[240:243], v212 offset:11424
	ds_read_b128 v[232:235], v212 offset:13328
	ds_read_b128 v[224:227], v212 offset:15232
	ds_read_b128 v[228:231], v212 offset:17136
	ds_read_b128 v[236:239], v212 offset:19040
	ds_read_b128 v[244:247], v212 offset:20944
	ds_read_b128 v[252:255], v212 offset:22848
	ds_read_b128 v[4:7], v212 offset:24752
	ds_read_b128 v[12:15], v212 offset:26656
	ds_read_b128 v[20:23], v212 offset:28560
	ds_read_b128 v[32:35], v212 offset:30464
	s_waitcnt lgkmcnt(14)
	v_add_f64 v[36:37], v[24:25], v[28:29]
	v_add_f64 v[38:39], v[26:27], v[30:31]
	;; [unrolled: 1-line block ×4, first 2 shown]
	s_waitcnt lgkmcnt(13)
	v_add_f64 v[36:37], v[36:37], v[8:9]
	v_add_f64 v[38:39], v[38:39], v[10:11]
	s_waitcnt lgkmcnt(12)
	v_add_f64 v[36:37], v[36:37], v[0:1]
	v_add_f64 v[38:39], v[38:39], v[2:3]
	;; [unrolled: 3-line block ×14, first 2 shown]
	buffer_store_dword v36, off, s[60:63], 0 offset:356 ; 4-byte Folded Spill
	s_nop 0
	buffer_store_dword v37, off, s[60:63], 0 offset:360 ; 4-byte Folded Spill
	buffer_store_dword v38, off, s[60:63], 0 offset:364 ; 4-byte Folded Spill
	;; [unrolled: 1-line block ×3, first 2 shown]
	v_add_f64 v[38:39], v[30:31], v[34:35]
	v_add_f64 v[30:31], v[30:31], -v[34:35]
	v_add_f64 v[36:37], v[28:29], v[32:33]
	v_add_f64 v[28:29], v[28:29], -v[32:33]
	s_waitcnt vmcnt(0)
	s_barrier
	v_mul_f64 v[40:41], v[38:39], s[26:27]
	v_mul_f64 v[32:33], v[30:31], s[24:25]
	;; [unrolled: 1-line block ×9, first 2 shown]
	v_fma_f64 v[34:35], v[36:37], s[26:27], v[32:33]
	v_fma_f64 v[32:33], v[36:37], s[26:27], -v[32:33]
	v_fma_f64 v[46:47], v[36:37], s[22:23], v[44:45]
	v_mul_f64 v[48:49], v[38:39], s[22:23]
	v_fma_f64 v[44:45], v[36:37], s[22:23], -v[44:45]
	v_fma_f64 v[54:55], v[36:37], s[12:13], v[52:53]
	v_mul_f64 v[56:57], v[38:39], s[12:13]
	;; [unrolled: 3-line block ×7, first 2 shown]
	v_fma_f64 v[30:31], v[36:37], s[40:41], -v[30:31]
	v_add_f64 v[34:35], v[24:25], v[34:35]
	v_fma_f64 v[42:43], v[28:29], s[48:49], v[40:41]
	v_add_f64 v[32:33], v[24:25], v[32:33]
	v_fma_f64 v[40:41], v[28:29], s[24:25], v[40:41]
	;; [unrolled: 2-line block ×16, first 2 shown]
	v_add_f64 v[30:31], v[18:19], v[22:23]
	v_add_f64 v[18:19], v[18:19], -v[22:23]
	v_add_f64 v[42:43], v[26:27], v[42:43]
	v_add_f64 v[40:41], v[26:27], v[40:41]
	;; [unrolled: 1-line block ×17, first 2 shown]
	v_add_f64 v[16:17], v[16:17], -v[20:21]
	v_mul_f64 v[20:21], v[18:19], s[20:21]
	v_fma_f64 v[22:23], v[28:29], s[22:23], v[20:21]
	v_fma_f64 v[20:21], v[28:29], s[22:23], -v[20:21]
	v_add_f64 v[22:23], v[22:23], v[34:35]
	v_mul_f64 v[34:35], v[30:31], s[22:23]
	v_add_f64 v[20:21], v[20:21], v[32:33]
	v_fma_f64 v[32:33], v[16:17], s[20:21], v[34:35]
	v_fma_f64 v[36:37], v[16:17], s[50:51], v[34:35]
	v_mul_f64 v[34:35], v[18:19], s[4:5]
	v_add_f64 v[32:33], v[32:33], v[40:41]
	v_mul_f64 v[40:41], v[30:31], s[6:7]
	v_add_f64 v[36:37], v[36:37], v[42:43]
	v_fma_f64 v[38:39], v[28:29], s[6:7], v[34:35]
	v_fma_f64 v[34:35], v[28:29], s[6:7], -v[34:35]
	v_fma_f64 v[42:43], v[16:17], s[56:57], v[40:41]
	v_fma_f64 v[40:41], v[16:17], s[4:5], v[40:41]
	v_add_f64 v[38:39], v[38:39], v[46:47]
	v_add_f64 v[34:35], v[34:35], v[44:45]
	v_mul_f64 v[44:45], v[18:19], s[28:29]
	v_add_f64 v[42:43], v[42:43], v[50:51]
	v_add_f64 v[40:41], v[40:41], v[48:49]
	v_mul_f64 v[48:49], v[30:31], s[30:31]
	v_fma_f64 v[46:47], v[28:29], s[30:31], v[44:45]
	v_fma_f64 v[44:45], v[28:29], s[30:31], -v[44:45]
	v_fma_f64 v[50:51], v[16:17], s[54:55], v[48:49]
	v_fma_f64 v[48:49], v[16:17], s[28:29], v[48:49]
	v_add_f64 v[46:47], v[46:47], v[54:55]
	v_add_f64 v[44:45], v[44:45], v[52:53]
	v_mul_f64 v[52:53], v[18:19], s[38:39]
	v_add_f64 v[50:51], v[50:51], v[58:59]
	v_add_f64 v[48:49], v[48:49], v[56:57]
	v_mul_f64 v[56:57], v[30:31], s[40:41]
	;; [unrolled: 10-line block ×4, first 2 shown]
	v_fma_f64 v[70:71], v[28:29], s[18:19], v[68:69]
	v_fma_f64 v[68:69], v[28:29], s[18:19], -v[68:69]
	v_fma_f64 v[74:75], v[16:17], s[16:17], v[72:73]
	v_fma_f64 v[72:73], v[16:17], s[42:43], v[72:73]
	v_add_f64 v[70:71], v[70:71], v[198:199]
	v_add_f64 v[68:69], v[68:69], v[196:197]
	v_mul_f64 v[196:197], v[18:19], s[44:45]
	v_mul_f64 v[18:19], v[18:19], s[48:49]
	v_add_f64 v[74:75], v[74:75], v[202:203]
	v_add_f64 v[72:73], v[72:73], v[200:201]
	v_mul_f64 v[200:201], v[30:31], s[12:13]
	v_mul_f64 v[30:31], v[30:31], s[26:27]
	v_fma_f64 v[198:199], v[28:29], s[12:13], v[196:197]
	v_fma_f64 v[196:197], v[28:29], s[12:13], -v[196:197]
	v_fma_f64 v[202:203], v[16:17], s[14:15], v[200:201]
	v_fma_f64 v[200:201], v[16:17], s[44:45], v[200:201]
	v_add_f64 v[198:199], v[198:199], v[210:211]
	v_add_f64 v[196:197], v[196:197], v[208:209]
	;; [unrolled: 1-line block ×3, first 2 shown]
	v_fma_f64 v[202:203], v[16:17], s[24:25], v[30:31]
	v_fma_f64 v[16:17], v[16:17], s[48:49], v[30:31]
	v_add_f64 v[76:77], v[200:201], v[76:77]
	v_fma_f64 v[200:201], v[28:29], s[26:27], v[18:19]
	v_fma_f64 v[18:19], v[28:29], s[26:27], -v[18:19]
	v_add_f64 v[202:203], v[202:203], v[222:223]
	v_add_f64 v[16:17], v[16:17], v[26:27]
	;; [unrolled: 1-line block ×3, first 2 shown]
	v_add_f64 v[10:11], v[10:11], -v[14:15]
	v_add_f64 v[18:19], v[18:19], v[24:25]
	v_add_f64 v[24:25], v[8:9], v[12:13]
	v_add_f64 v[8:9], v[8:9], -v[12:13]
	v_add_f64 v[200:201], v[200:201], v[220:221]
	v_mul_f64 v[12:13], v[10:11], s[14:15]
	v_fma_f64 v[14:15], v[24:25], s[12:13], v[12:13]
	v_fma_f64 v[12:13], v[24:25], s[12:13], -v[12:13]
	v_add_f64 v[14:15], v[14:15], v[22:23]
	v_mul_f64 v[22:23], v[26:27], s[12:13]
	v_add_f64 v[12:13], v[12:13], v[20:21]
	v_fma_f64 v[20:21], v[8:9], s[14:15], v[22:23]
	v_fma_f64 v[28:29], v[8:9], s[44:45], v[22:23]
	v_mul_f64 v[22:23], v[10:11], s[28:29]
	v_add_f64 v[20:21], v[20:21], v[32:33]
	v_mul_f64 v[32:33], v[26:27], s[30:31]
	v_add_f64 v[28:29], v[28:29], v[36:37]
	v_fma_f64 v[30:31], v[24:25], s[30:31], v[22:23]
	v_fma_f64 v[22:23], v[24:25], s[30:31], -v[22:23]
	v_fma_f64 v[36:37], v[8:9], s[54:55], v[32:33]
	v_fma_f64 v[32:33], v[8:9], s[28:29], v[32:33]
	v_add_f64 v[30:31], v[30:31], v[38:39]
	v_add_f64 v[22:23], v[22:23], v[34:35]
	v_mul_f64 v[34:35], v[10:11], s[52:53]
	v_add_f64 v[36:37], v[36:37], v[42:43]
	v_add_f64 v[32:33], v[32:33], v[40:41]
	v_mul_f64 v[40:41], v[26:27], s[40:41]
	v_fma_f64 v[38:39], v[24:25], s[40:41], v[34:35]
	v_fma_f64 v[34:35], v[24:25], s[40:41], -v[34:35]
	v_fma_f64 v[42:43], v[8:9], s[38:39], v[40:41]
	v_fma_f64 v[40:41], v[8:9], s[52:53], v[40:41]
	v_add_f64 v[38:39], v[38:39], v[46:47]
	v_add_f64 v[34:35], v[34:35], v[44:45]
	v_mul_f64 v[44:45], v[10:11], s[42:43]
	v_add_f64 v[42:43], v[42:43], v[50:51]
	v_add_f64 v[40:41], v[40:41], v[48:49]
	v_mul_f64 v[48:49], v[26:27], s[18:19]
	;; [unrolled: 10-line block ×4, first 2 shown]
	v_fma_f64 v[62:63], v[24:25], s[26:27], v[60:61]
	v_fma_f64 v[60:61], v[24:25], s[26:27], -v[60:61]
	v_fma_f64 v[66:67], v[8:9], s[48:49], v[64:65]
	v_fma_f64 v[64:65], v[8:9], s[24:25], v[64:65]
	v_add_f64 v[62:63], v[62:63], v[70:71]
	v_add_f64 v[60:61], v[60:61], v[68:69]
	v_mul_f64 v[68:69], v[10:11], s[4:5]
	v_mul_f64 v[10:11], v[10:11], s[34:35]
	v_add_f64 v[66:67], v[66:67], v[74:75]
	v_add_f64 v[64:65], v[64:65], v[72:73]
	v_mul_f64 v[72:73], v[26:27], s[6:7]
	v_mul_f64 v[26:27], v[26:27], s[36:37]
	v_fma_f64 v[70:71], v[24:25], s[6:7], v[68:69]
	v_fma_f64 v[68:69], v[24:25], s[6:7], -v[68:69]
	v_fma_f64 v[74:75], v[8:9], s[56:57], v[72:73]
	v_fma_f64 v[72:73], v[8:9], s[4:5], v[72:73]
	v_add_f64 v[70:71], v[70:71], v[198:199]
	v_add_f64 v[68:69], v[68:69], v[196:197]
	;; [unrolled: 1-line block ×3, first 2 shown]
	v_add_f64 v[198:199], v[224:225], -v[228:229]
	v_add_f64 v[74:75], v[74:75], v[78:79]
	v_add_f64 v[72:73], v[72:73], v[76:77]
	v_fma_f64 v[76:77], v[24:25], s[36:37], v[10:11]
	v_fma_f64 v[10:11], v[24:25], s[36:37], -v[10:11]
	v_fma_f64 v[78:79], v[8:9], s[46:47], v[26:27]
	v_fma_f64 v[8:9], v[8:9], s[34:35], v[26:27]
	v_add_f64 v[76:77], v[76:77], v[200:201]
	v_add_f64 v[10:11], v[10:11], v[18:19]
	;; [unrolled: 1-line block ×3, first 2 shown]
	v_add_f64 v[2:3], v[2:3], -v[6:7]
	v_add_f64 v[8:9], v[8:9], v[16:17]
	v_add_f64 v[16:17], v[0:1], v[4:5]
	v_add_f64 v[0:1], v[0:1], -v[4:5]
	v_add_f64 v[78:79], v[78:79], v[202:203]
	v_add_f64 v[200:201], v[226:227], -v[230:231]
	v_mul_f64 v[26:27], v[18:19], s[40:41]
	v_mul_f64 v[4:5], v[2:3], s[4:5]
	v_fma_f64 v[6:7], v[16:17], s[6:7], v[4:5]
	v_fma_f64 v[4:5], v[16:17], s[6:7], -v[4:5]
	v_add_f64 v[6:7], v[6:7], v[14:15]
	v_mul_f64 v[14:15], v[18:19], s[6:7]
	v_add_f64 v[4:5], v[4:5], v[12:13]
	v_fma_f64 v[24:25], v[0:1], s[56:57], v[14:15]
	v_fma_f64 v[12:13], v[0:1], s[4:5], v[14:15]
	v_mul_f64 v[14:15], v[2:3], s[38:39]
	v_add_f64 v[24:25], v[24:25], v[28:29]
	v_add_f64 v[12:13], v[12:13], v[20:21]
	v_fma_f64 v[20:21], v[16:17], s[40:41], v[14:15]
	v_fma_f64 v[14:15], v[16:17], s[40:41], -v[14:15]
	v_fma_f64 v[28:29], v[0:1], s[52:53], v[26:27]
	v_add_f64 v[20:21], v[20:21], v[30:31]
	v_add_f64 v[14:15], v[14:15], v[22:23]
	v_fma_f64 v[22:23], v[0:1], s[38:39], v[26:27]
	v_mul_f64 v[26:27], v[2:3], s[42:43]
	v_add_f64 v[28:29], v[28:29], v[36:37]
	v_add_f64 v[22:23], v[22:23], v[32:33]
	v_fma_f64 v[30:31], v[16:17], s[18:19], v[26:27]
	v_mul_f64 v[32:33], v[18:19], s[18:19]
	v_fma_f64 v[26:27], v[16:17], s[18:19], -v[26:27]
	v_add_f64 v[30:31], v[30:31], v[38:39]
	v_fma_f64 v[36:37], v[0:1], s[16:17], v[32:33]
	v_add_f64 v[26:27], v[26:27], v[34:35]
	v_fma_f64 v[32:33], v[0:1], s[42:43], v[32:33]
	v_mul_f64 v[34:35], v[2:3], s[48:49]
	v_add_f64 v[36:37], v[36:37], v[42:43]
	v_add_f64 v[32:33], v[32:33], v[40:41]
	v_fma_f64 v[38:39], v[16:17], s[26:27], v[34:35]
	v_mul_f64 v[40:41], v[18:19], s[26:27]
	v_fma_f64 v[34:35], v[16:17], s[26:27], -v[34:35]
	v_add_f64 v[38:39], v[38:39], v[46:47]
	v_fma_f64 v[42:43], v[0:1], s[24:25], v[40:41]
	;; [unrolled: 10-line block ×4, first 2 shown]
	v_add_f64 v[52:53], v[52:53], v[60:61]
	v_fma_f64 v[56:57], v[0:1], s[34:35], v[56:57]
	v_mul_f64 v[60:61], v[2:3], s[54:55]
	v_mul_f64 v[2:3], v[2:3], s[50:51]
	v_add_f64 v[58:59], v[58:59], v[66:67]
	v_add_f64 v[56:57], v[56:57], v[64:65]
	v_fma_f64 v[62:63], v[16:17], s[30:31], v[60:61]
	v_mul_f64 v[64:65], v[18:19], s[30:31]
	v_mul_f64 v[18:19], v[18:19], s[22:23]
	v_fma_f64 v[60:61], v[16:17], s[30:31], -v[60:61]
	v_add_f64 v[62:63], v[62:63], v[70:71]
	v_fma_f64 v[66:67], v[0:1], s[28:29], v[64:65]
	v_fma_f64 v[64:65], v[0:1], s[54:55], v[64:65]
	;; [unrolled: 1-line block ×4, first 2 shown]
	v_add_f64 v[18:19], v[250:251], -v[254:255]
	v_add_f64 v[60:61], v[60:61], v[68:69]
	v_fma_f64 v[68:69], v[16:17], s[22:23], v[2:3]
	v_fma_f64 v[2:3], v[16:17], s[22:23], -v[2:3]
	v_add_f64 v[66:67], v[66:67], v[74:75]
	v_add_f64 v[64:65], v[64:65], v[72:73]
	v_add_f64 v[16:17], v[248:249], -v[252:253]
	v_add_f64 v[0:1], v[0:1], v[8:9]
	v_add_f64 v[8:9], v[248:249], v[252:253]
	v_mul_f64 v[72:73], v[18:19], s[16:17]
	v_add_f64 v[68:69], v[68:69], v[76:77]
	v_add_f64 v[2:3], v[2:3], v[10:11]
	;; [unrolled: 1-line block ×5, first 2 shown]
	v_fma_f64 v[74:75], v[8:9], s[18:19], v[72:73]
	v_fma_f64 v[72:73], v[8:9], s[18:19], -v[72:73]
	v_add_f64 v[6:7], v[74:75], v[6:7]
	v_mul_f64 v[74:75], v[10:11], s[18:19]
	v_add_f64 v[4:5], v[72:73], v[4:5]
	v_fma_f64 v[72:73], v[16:17], s[16:17], v[74:75]
	v_fma_f64 v[76:77], v[16:17], s[42:43], v[74:75]
	v_add_f64 v[12:13], v[72:73], v[12:13]
	v_mul_f64 v[72:73], v[18:19], s[46:47]
	v_add_f64 v[24:25], v[76:77], v[24:25]
	v_fma_f64 v[74:75], v[8:9], s[36:37], v[72:73]
	v_fma_f64 v[72:73], v[8:9], s[36:37], -v[72:73]
	v_add_f64 v[20:21], v[74:75], v[20:21]
	v_mul_f64 v[74:75], v[10:11], s[36:37]
	v_add_f64 v[14:15], v[72:73], v[14:15]
	v_fma_f64 v[72:73], v[16:17], s[46:47], v[74:75]
	v_fma_f64 v[76:77], v[16:17], s[34:35], v[74:75]
	v_add_f64 v[22:23], v[72:73], v[22:23]
	v_mul_f64 v[72:73], v[18:19], s[50:51]
	v_add_f64 v[28:29], v[76:77], v[28:29]
	;; [unrolled: 10-line block ×5, first 2 shown]
	v_fma_f64 v[74:75], v[8:9], s[6:7], v[72:73]
	v_fma_f64 v[72:73], v[8:9], s[6:7], -v[72:73]
	v_add_f64 v[54:55], v[74:75], v[54:55]
	v_mul_f64 v[74:75], v[10:11], s[6:7]
	v_add_f64 v[52:53], v[72:73], v[52:53]
	v_fma_f64 v[72:73], v[16:17], s[56:57], v[74:75]
	v_fma_f64 v[76:77], v[16:17], s[4:5], v[74:75]
	v_add_f64 v[56:57], v[72:73], v[56:57]
	v_mul_f64 v[72:73], v[18:19], s[24:25]
	v_mul_f64 v[18:19], v[18:19], s[28:29]
	v_add_f64 v[58:59], v[76:77], v[58:59]
	v_fma_f64 v[74:75], v[8:9], s[26:27], v[72:73]
	v_fma_f64 v[72:73], v[8:9], s[26:27], -v[72:73]
	v_add_f64 v[62:63], v[74:75], v[62:63]
	v_mul_f64 v[74:75], v[10:11], s[26:27]
	v_add_f64 v[60:61], v[72:73], v[60:61]
	v_mul_f64 v[10:11], v[10:11], s[30:31]
	v_fma_f64 v[72:73], v[16:17], s[24:25], v[74:75]
	v_fma_f64 v[76:77], v[16:17], s[48:49], v[74:75]
	v_add_f64 v[64:65], v[72:73], v[64:65]
	v_fma_f64 v[72:73], v[8:9], s[30:31], v[18:19]
	v_fma_f64 v[8:9], v[8:9], s[30:31], -v[18:19]
	v_add_f64 v[18:19], v[242:243], -v[246:247]
	v_add_f64 v[66:67], v[76:77], v[66:67]
	v_add_f64 v[68:69], v[72:73], v[68:69]
	v_fma_f64 v[72:73], v[16:17], s[54:55], v[10:11]
	v_add_f64 v[2:3], v[8:9], v[2:3]
	v_fma_f64 v[8:9], v[16:17], s[28:29], v[10:11]
	v_add_f64 v[10:11], v[242:243], v[246:247]
	v_add_f64 v[16:17], v[240:241], -v[244:245]
	v_add_f64 v[70:71], v[72:73], v[70:71]
	v_mul_f64 v[72:73], v[18:19], s[28:29]
	v_add_f64 v[0:1], v[8:9], v[0:1]
	v_add_f64 v[8:9], v[240:241], v[244:245]
	v_fma_f64 v[74:75], v[8:9], s[30:31], v[72:73]
	v_fma_f64 v[72:73], v[8:9], s[30:31], -v[72:73]
	v_add_f64 v[6:7], v[74:75], v[6:7]
	v_mul_f64 v[74:75], v[10:11], s[30:31]
	v_add_f64 v[4:5], v[72:73], v[4:5]
	v_fma_f64 v[72:73], v[16:17], s[28:29], v[74:75]
	v_fma_f64 v[76:77], v[16:17], s[54:55], v[74:75]
	v_add_f64 v[12:13], v[72:73], v[12:13]
	v_mul_f64 v[72:73], v[18:19], s[42:43]
	v_add_f64 v[24:25], v[76:77], v[24:25]
	v_fma_f64 v[74:75], v[8:9], s[18:19], v[72:73]
	v_fma_f64 v[72:73], v[8:9], s[18:19], -v[72:73]
	v_add_f64 v[20:21], v[74:75], v[20:21]
	v_mul_f64 v[74:75], v[10:11], s[18:19]
	v_add_f64 v[14:15], v[72:73], v[14:15]
	v_fma_f64 v[72:73], v[16:17], s[42:43], v[74:75]
	v_fma_f64 v[76:77], v[16:17], s[16:17], v[74:75]
	v_add_f64 v[22:23], v[72:73], v[22:23]
	v_mul_f64 v[72:73], v[18:19], s[24:25]
	;; [unrolled: 10-line block ×6, first 2 shown]
	v_mul_f64 v[18:19], v[18:19], s[44:45]
	v_add_f64 v[58:59], v[76:77], v[58:59]
	v_fma_f64 v[74:75], v[8:9], s[40:41], v[72:73]
	v_fma_f64 v[72:73], v[8:9], s[40:41], -v[72:73]
	v_add_f64 v[62:63], v[74:75], v[62:63]
	v_mul_f64 v[74:75], v[10:11], s[40:41]
	v_add_f64 v[60:61], v[72:73], v[60:61]
	v_mul_f64 v[10:11], v[10:11], s[12:13]
	v_fma_f64 v[72:73], v[16:17], s[38:39], v[74:75]
	v_fma_f64 v[76:77], v[16:17], s[52:53], v[74:75]
	v_add_f64 v[64:65], v[72:73], v[64:65]
	v_fma_f64 v[72:73], v[8:9], s[12:13], v[18:19]
	v_fma_f64 v[8:9], v[8:9], s[12:13], -v[18:19]
	v_add_f64 v[18:19], v[234:235], -v[238:239]
	v_add_f64 v[66:67], v[76:77], v[66:67]
	v_add_f64 v[68:69], v[72:73], v[68:69]
	v_fma_f64 v[72:73], v[16:17], s[14:15], v[10:11]
	v_add_f64 v[2:3], v[8:9], v[2:3]
	v_fma_f64 v[8:9], v[16:17], s[44:45], v[10:11]
	v_add_f64 v[10:11], v[234:235], v[238:239]
	v_add_f64 v[16:17], v[232:233], -v[236:237]
	v_add_f64 v[70:71], v[72:73], v[70:71]
	v_mul_f64 v[72:73], v[18:19], s[34:35]
	v_add_f64 v[0:1], v[8:9], v[0:1]
	v_add_f64 v[8:9], v[232:233], v[236:237]
	v_fma_f64 v[74:75], v[8:9], s[36:37], v[72:73]
	v_fma_f64 v[72:73], v[8:9], s[36:37], -v[72:73]
	v_add_f64 v[6:7], v[74:75], v[6:7]
	v_mul_f64 v[74:75], v[10:11], s[36:37]
	v_add_f64 v[4:5], v[72:73], v[4:5]
	v_fma_f64 v[72:73], v[16:17], s[34:35], v[74:75]
	v_fma_f64 v[76:77], v[16:17], s[46:47], v[74:75]
	v_add_f64 v[12:13], v[72:73], v[12:13]
	v_mul_f64 v[72:73], v[18:19], s[44:45]
	v_add_f64 v[24:25], v[76:77], v[24:25]
	v_fma_f64 v[74:75], v[8:9], s[12:13], v[72:73]
	v_fma_f64 v[72:73], v[8:9], s[12:13], -v[72:73]
	v_add_f64 v[20:21], v[74:75], v[20:21]
	v_mul_f64 v[74:75], v[10:11], s[12:13]
	v_add_f64 v[72:73], v[72:73], v[14:15]
	v_fma_f64 v[14:15], v[16:17], s[44:45], v[74:75]
	v_fma_f64 v[76:77], v[16:17], s[14:15], v[74:75]
	v_add_f64 v[22:23], v[14:15], v[22:23]
	v_mul_f64 v[14:15], v[18:19], s[4:5]
	;; [unrolled: 10-line block ×6, first 2 shown]
	v_add_f64 v[58:59], v[76:77], v[58:59]
	v_fma_f64 v[74:75], v[8:9], s[22:23], v[14:15]
	v_fma_f64 v[14:15], v[8:9], s[22:23], -v[14:15]
	v_add_f64 v[62:63], v[74:75], v[62:63]
	v_mul_f64 v[74:75], v[10:11], s[22:23]
	v_add_f64 v[60:61], v[14:15], v[60:61]
	v_mul_f64 v[10:11], v[10:11], s[18:19]
	v_fma_f64 v[14:15], v[16:17], s[50:51], v[74:75]
	v_fma_f64 v[76:77], v[16:17], s[20:21], v[74:75]
	v_add_f64 v[64:65], v[14:15], v[64:65]
	v_mul_f64 v[14:15], v[18:19], s[16:17]
	v_add_f64 v[66:67], v[76:77], v[66:67]
	v_fma_f64 v[18:19], v[8:9], s[18:19], v[14:15]
	v_fma_f64 v[8:9], v[8:9], s[18:19], -v[14:15]
	v_add_f64 v[68:69], v[18:19], v[68:69]
	v_add_f64 v[74:75], v[8:9], v[2:3]
	v_fma_f64 v[2:3], v[16:17], s[16:17], v[10:11]
	v_fma_f64 v[18:19], v[16:17], s[42:43], v[10:11]
	v_add_f64 v[76:77], v[2:3], v[0:1]
	v_mul_f64 v[0:1], v[200:201], s[38:39]
	v_add_f64 v[70:71], v[18:19], v[70:71]
	v_fma_f64 v[2:3], v[78:79], s[40:41], v[0:1]
	v_fma_f64 v[0:1], v[78:79], s[40:41], -v[0:1]
	v_add_f64 v[8:9], v[2:3], v[6:7]
	v_mul_f64 v[2:3], v[196:197], s[40:41]
	v_add_f64 v[0:1], v[0:1], v[4:5]
	v_mul_f64 v[4:5], v[200:201], s[48:49]
	v_fma_f64 v[6:7], v[198:199], s[52:53], v[2:3]
	v_fma_f64 v[2:3], v[198:199], s[38:39], v[2:3]
	v_add_f64 v[10:11], v[6:7], v[24:25]
	v_fma_f64 v[6:7], v[78:79], s[26:27], v[4:5]
	v_add_f64 v[2:3], v[2:3], v[12:13]
	v_mul_f64 v[24:25], v[200:201], s[50:51]
	v_fma_f64 v[4:5], v[78:79], s[26:27], -v[4:5]
	v_add_f64 v[12:13], v[6:7], v[20:21]
	v_mul_f64 v[6:7], v[196:197], s[26:27]
	v_mul_f64 v[20:21], v[200:201], s[34:35]
	v_add_f64 v[4:5], v[4:5], v[72:73]
	v_fma_f64 v[14:15], v[198:199], s[24:25], v[6:7]
	v_fma_f64 v[6:7], v[198:199], s[48:49], v[6:7]
	;; [unrolled: 1-line block ×3, first 2 shown]
	v_fma_f64 v[20:21], v[78:79], s[36:37], -v[20:21]
	v_add_f64 v[14:15], v[14:15], v[28:29]
	v_add_f64 v[6:7], v[6:7], v[22:23]
	v_mul_f64 v[22:23], v[196:197], s[36:37]
	v_add_f64 v[224:225], v[20:21], v[26:27]
	v_add_f64 v[16:17], v[16:17], v[30:31]
	v_mul_f64 v[26:27], v[196:197], s[22:23]
	v_fma_f64 v[20:21], v[198:199], s[34:35], v[22:23]
	v_fma_f64 v[18:19], v[198:199], s[46:47], v[22:23]
	;; [unrolled: 1-line block ×4, first 2 shown]
	v_add_f64 v[226:227], v[20:21], v[32:33]
	v_fma_f64 v[20:21], v[78:79], s[22:23], v[24:25]
	v_fma_f64 v[24:25], v[78:79], s[22:23], -v[24:25]
	v_mul_f64 v[32:33], v[200:201], s[28:29]
	v_add_f64 v[22:23], v[22:23], v[42:43]
	v_mul_f64 v[42:43], v[196:197], s[12:13]
	v_add_f64 v[26:27], v[26:27], v[40:41]
	;; [unrolled: 2-line block ×3, first 2 shown]
	v_add_f64 v[20:21], v[20:21], v[38:39]
	v_add_f64 v[24:25], v[24:25], v[34:35]
	v_mul_f64 v[34:35], v[196:197], s[30:31]
	v_fma_f64 v[28:29], v[78:79], s[30:31], v[32:33]
	v_fma_f64 v[32:33], v[78:79], s[30:31], -v[32:33]
	v_fma_f64 v[38:39], v[198:199], s[14:15], v[42:43]
	v_fma_f64 v[42:43], v[198:199], s[44:45], v[42:43]
	;; [unrolled: 1-line block ×3, first 2 shown]
	v_fma_f64 v[40:41], v[78:79], s[12:13], -v[40:41]
	v_fma_f64 v[30:31], v[198:199], s[54:55], v[34:35]
	v_fma_f64 v[34:35], v[198:199], s[28:29], v[34:35]
	v_add_f64 v[32:33], v[32:33], v[44:45]
	v_add_f64 v[38:39], v[38:39], v[58:59]
	;; [unrolled: 1-line block ×3, first 2 shown]
	v_mul_f64 v[56:57], v[200:201], s[56:57]
	v_mul_f64 v[58:59], v[196:197], s[6:7]
	v_add_f64 v[28:29], v[28:29], v[46:47]
	v_add_f64 v[30:31], v[30:31], v[50:51]
	;; [unrolled: 1-line block ×3, first 2 shown]
	v_mul_f64 v[48:49], v[200:201], s[16:17]
	v_mul_f64 v[50:51], v[196:197], s[18:19]
	v_add_f64 v[36:37], v[36:37], v[54:55]
	v_add_f64 v[40:41], v[40:41], v[52:53]
	v_fma_f64 v[52:53], v[78:79], s[6:7], v[56:57]
	v_fma_f64 v[54:55], v[198:199], s[4:5], v[58:59]
	v_fma_f64 v[56:57], v[78:79], s[6:7], -v[56:57]
	v_fma_f64 v[58:59], v[198:199], s[56:57], v[58:59]
	v_fma_f64 v[44:45], v[78:79], s[18:19], v[48:49]
	v_fma_f64 v[48:49], v[78:79], s[18:19], -v[48:49]
	v_fma_f64 v[46:47], v[198:199], s[42:43], v[50:51]
	v_fma_f64 v[50:51], v[198:199], s[16:17], v[50:51]
	v_add_f64 v[52:53], v[52:53], v[68:69]
	v_add_f64 v[54:55], v[54:55], v[70:71]
	;; [unrolled: 1-line block ×6, first 2 shown]
	buffer_load_dword v60, off, s[60:63], 0 offset:356 ; 4-byte Folded Reload
	buffer_load_dword v61, off, s[60:63], 0 offset:360 ; 4-byte Folded Reload
	;; [unrolled: 1-line block ×4, first 2 shown]
	v_add_f64 v[46:47], v[46:47], v[66:67]
	v_add_f64 v[50:51], v[50:51], v[64:65]
	s_waitcnt vmcnt(0)
	ds_write_b128 v214, v[60:63]
	ds_write_b128 v214, v[8:11] offset:16
	ds_write_b128 v214, v[12:15] offset:32
	;; [unrolled: 1-line block ×16, first 2 shown]
	s_waitcnt lgkmcnt(0)
	s_barrier
	ds_read_b128 v[12:15], v212
	ds_read_b128 v[28:31], v212 offset:4624
	ds_read_b128 v[252:255], v212 offset:9248
	;; [unrolled: 1-line block ×13, first 2 shown]
	s_and_saveexec_b64 s[0:1], vcc
	s_cbranch_execz .LBB0_7
; %bb.6:
	ds_read_b128 v[224:227], v212 offset:3808
	ds_read_b128 v[4:7], v212 offset:8432
	;; [unrolled: 1-line block ×4, first 2 shown]
	s_waitcnt lgkmcnt(0)
	buffer_store_dword v32, off, s[60:63], 0 ; 4-byte Folded Spill
	s_nop 0
	buffer_store_dword v33, off, s[60:63], 0 offset:4 ; 4-byte Folded Spill
	buffer_store_dword v34, off, s[60:63], 0 offset:8 ; 4-byte Folded Spill
	buffer_store_dword v35, off, s[60:63], 0 offset:12 ; 4-byte Folded Spill
	ds_read_b128 v[32:35], v212 offset:22304
	s_waitcnt lgkmcnt(0)
	buffer_store_dword v32, off, s[60:63], 0 offset:16 ; 4-byte Folded Spill
	s_nop 0
	buffer_store_dword v33, off, s[60:63], 0 offset:20 ; 4-byte Folded Spill
	buffer_store_dword v34, off, s[60:63], 0 offset:24 ; 4-byte Folded Spill
	buffer_store_dword v35, off, s[60:63], 0 offset:28 ; 4-byte Folded Spill
	ds_read_b128 v[32:35], v212 offset:26928
	s_waitcnt lgkmcnt(0)
	buffer_store_dword v32, off, s[60:63], 0 offset:32 ; 4-byte Folded Spill
	;; [unrolled: 7-line block ×3, first 2 shown]
	s_nop 0
	buffer_store_dword v33, off, s[60:63], 0 offset:52 ; 4-byte Folded Spill
	buffer_store_dword v34, off, s[60:63], 0 offset:56 ; 4-byte Folded Spill
	;; [unrolled: 1-line block ×3, first 2 shown]
.LBB0_7:
	s_or_b64 exec, exec, s[0:1]
	s_waitcnt lgkmcnt(2)
	v_mul_f64 v[64:65], v[102:103], v[26:27]
	v_mul_f64 v[32:33], v[138:139], v[30:31]
	;; [unrolled: 1-line block ×8, first 2 shown]
	v_fma_f64 v[64:65], v[100:101], v[24:25], v[64:65]
	v_mul_f64 v[24:25], v[102:103], v[24:25]
	v_fma_f64 v[32:33], v[136:137], v[28:29], v[32:33]
	v_mul_f64 v[28:29], v[138:139], v[28:29]
	v_fma_f64 v[34:35], v[132:133], v[254:255], -v[34:35]
	v_mul_f64 v[38:39], v[126:127], v[248:249]
	v_mul_f64 v[40:41], v[114:115], v[246:247]
	;; [unrolled: 1-line block ×3, first 2 shown]
	v_fma_f64 v[44:45], v[128:129], v[240:241], v[44:45]
	v_fma_f64 v[66:67], v[100:101], v[26:27], -v[24:25]
	s_waitcnt lgkmcnt(1)
	v_mul_f64 v[24:25], v[98:99], v[22:23]
	v_fma_f64 v[28:29], v[136:137], v[30:31], -v[28:29]
	v_mul_f64 v[30:31], v[134:135], v[254:255]
	v_fma_f64 v[46:47], v[128:129], v[242:243], -v[46:47]
	v_fma_f64 v[48:49], v[120:121], v[236:237], v[48:49]
	v_fma_f64 v[50:51], v[120:121], v[238:239], -v[50:51]
	v_fma_f64 v[36:37], v[124:125], v[248:249], v[36:37]
	;; [unrolled: 2-line block ×3, first 2 shown]
	v_mul_f64 v[20:21], v[98:99], v[20:21]
	v_fma_f64 v[30:31], v[132:133], v[252:253], v[30:31]
	v_fma_f64 v[40:41], v[112:113], v[244:245], v[40:41]
	v_fma_f64 v[42:43], v[112:113], v[246:247], -v[42:43]
	v_add_f64 v[26:27], v[34:35], v[46:47]
	s_mov_b32 s14, 0x37e14327
	s_mov_b32 s4, 0x36b3c0b5
	s_mov_b32 s12, 0xe976ee23
	v_fma_f64 v[70:71], v[96:97], v[22:23], -v[20:21]
	s_waitcnt lgkmcnt(0)
	v_mul_f64 v[20:21], v[94:95], v[18:19]
	v_add_f64 v[24:25], v[30:31], v[44:45]
	v_add_f64 v[22:23], v[28:29], -v[50:51]
	s_mov_b32 s0, 0x429ad128
	s_mov_b32 s15, 0x3fe948f6
	;; [unrolled: 1-line block ×5, first 2 shown]
	v_fma_f64 v[72:73], v[92:93], v[16:17], v[20:21]
	v_mul_f64 v[16:17], v[94:95], v[16:17]
	v_add_f64 v[20:21], v[32:33], -v[48:49]
	s_mov_b32 s16, 0xaaaaaaaa
	s_mov_b32 s6, 0x5476071b
	;; [unrolled: 1-line block ×6, first 2 shown]
	v_fma_f64 v[74:75], v[92:93], v[18:19], -v[16:17]
	v_add_f64 v[16:17], v[32:33], v[48:49]
	v_add_f64 v[18:19], v[28:29], v[50:51]
	v_add_f64 v[28:29], v[30:31], -v[44:45]
	v_add_f64 v[30:31], v[34:35], -v[46:47]
	v_add_f64 v[32:33], v[36:37], v[40:41]
	v_add_f64 v[34:35], v[38:39], v[42:43]
	v_add_f64 v[36:37], v[40:41], -v[36:37]
	v_add_f64 v[38:39], v[42:43], -v[38:39]
	;; [unrolled: 4-line block ×3, first 2 shown]
	v_add_f64 v[16:17], v[16:17], -v[32:33]
	v_add_f64 v[18:19], v[18:19], -v[34:35]
	;; [unrolled: 1-line block ×4, first 2 shown]
	v_add_f64 v[48:49], v[36:37], v[28:29]
	v_add_f64 v[50:51], v[38:39], v[30:31]
	v_add_f64 v[76:77], v[36:37], -v[28:29]
	v_add_f64 v[78:79], v[38:39], -v[30:31]
	;; [unrolled: 1-line block ×4, first 2 shown]
	v_add_f64 v[32:33], v[32:33], v[40:41]
	v_add_f64 v[34:35], v[34:35], v[42:43]
	v_add_f64 v[36:37], v[20:21], -v[36:37]
	v_add_f64 v[38:39], v[22:23], -v[38:39]
	v_add_f64 v[20:21], v[48:49], v[20:21]
	v_add_f64 v[22:23], v[50:51], v[22:23]
	v_mul_f64 v[16:17], v[16:17], s[14:15]
	v_mul_f64 v[18:19], v[18:19], s[14:15]
	v_add_f64 v[12:13], v[12:13], v[32:33]
	v_add_f64 v[14:15], v[14:15], v[34:35]
	v_mul_f64 v[40:41], v[24:25], s[4:5]
	v_mul_f64 v[42:43], v[26:27], s[4:5]
	;; [unrolled: 1-line block ×6, first 2 shown]
	s_mov_b32 s20, s6
	s_mov_b32 s23, 0xbfd5d0dc
	;; [unrolled: 1-line block ×4, first 2 shown]
	v_mul_f64 v[52:53], v[118:119], v[234:235]
	v_mul_f64 v[54:55], v[118:119], v[232:233]
	v_mul_f64 v[56:57], v[110:111], v[230:231]
	v_mul_f64 v[58:59], v[110:111], v[228:229]
	v_fma_f64 v[32:33], v[32:33], s[16:17], v[12:13]
	v_fma_f64 v[34:35], v[34:35], s[16:17], v[14:15]
	;; [unrolled: 1-line block ×4, first 2 shown]
	v_fma_f64 v[40:41], v[44:45], s[6:7], -v[40:41]
	v_fma_f64 v[42:43], v[46:47], s[6:7], -v[42:43]
	;; [unrolled: 1-line block ×4, first 2 shown]
	v_fma_f64 v[44:45], v[36:37], s[22:23], v[48:49]
	v_fma_f64 v[46:47], v[38:39], s[22:23], v[50:51]
	v_fma_f64 v[28:29], v[28:29], s[0:1], -v[48:49]
	v_fma_f64 v[30:31], v[30:31], s[0:1], -v[50:51]
	;; [unrolled: 1-line block ×4, first 2 shown]
	s_mov_b32 s18, 0x37c3f68c
	s_mov_b32 s19, 0xbfdc38aa
	v_fma_f64 v[52:53], v[116:117], v[232:233], v[52:53]
	v_fma_f64 v[54:55], v[116:117], v[234:235], -v[54:55]
	v_fma_f64 v[56:57], v[108:109], v[228:229], v[56:57]
	v_fma_f64 v[58:59], v[108:109], v[230:231], -v[58:59]
	v_mul_f64 v[60:61], v[106:107], v[222:223]
	v_mul_f64 v[62:63], v[106:107], v[220:221]
	v_add_f64 v[48:49], v[24:25], v[32:33]
	v_add_f64 v[50:51], v[26:27], v[34:35]
	;; [unrolled: 1-line block ×6, first 2 shown]
	v_fma_f64 v[44:45], v[20:21], s[18:19], v[44:45]
	v_fma_f64 v[46:47], v[22:23], s[18:19], v[46:47]
	;; [unrolled: 1-line block ×7, first 2 shown]
	v_fma_f64 v[62:63], v[104:105], v[222:223], -v[62:63]
	v_add_f64 v[18:19], v[50:51], -v[44:45]
	v_add_f64 v[16:17], v[46:47], v[48:49]
	v_add_f64 v[26:27], v[76:77], v[42:43]
	v_add_f64 v[24:25], v[40:41], -v[28:29]
	v_add_f64 v[22:23], v[34:35], -v[36:37]
	v_add_f64 v[20:21], v[38:39], v[32:33]
	v_add_f64 v[28:29], v[28:29], v[40:41]
	v_add_f64 v[30:31], v[42:43], -v[76:77]
	v_add_f64 v[32:33], v[32:33], -v[38:39]
	v_add_f64 v[34:35], v[36:37], v[34:35]
	v_add_f64 v[36:37], v[48:49], -v[46:47]
	v_add_f64 v[38:39], v[44:45], v[50:51]
	v_add_f64 v[40:41], v[52:53], v[72:73]
	;; [unrolled: 1-line block ×5, first 2 shown]
	v_add_f64 v[44:45], v[52:53], -v[72:73]
	v_add_f64 v[46:47], v[54:55], -v[74:75]
	;; [unrolled: 1-line block ×4, first 2 shown]
	v_add_f64 v[56:57], v[60:61], v[64:65]
	v_add_f64 v[58:59], v[62:63], v[66:67]
	v_add_f64 v[60:61], v[64:65], -v[60:61]
	v_add_f64 v[62:63], v[66:67], -v[62:63]
	v_add_f64 v[64:65], v[48:49], v[40:41]
	v_add_f64 v[66:67], v[50:51], v[42:43]
	v_add_f64 v[68:69], v[48:49], -v[40:41]
	v_add_f64 v[70:71], v[50:51], -v[42:43]
	;; [unrolled: 1-line block ×6, first 2 shown]
	v_add_f64 v[72:73], v[60:61], v[52:53]
	v_add_f64 v[74:75], v[62:63], v[54:55]
	v_add_f64 v[76:77], v[60:61], -v[52:53]
	v_add_f64 v[78:79], v[62:63], -v[54:55]
	;; [unrolled: 1-line block ×4, first 2 shown]
	v_add_f64 v[56:57], v[56:57], v[64:65]
	v_add_f64 v[58:59], v[58:59], v[66:67]
	v_add_f64 v[60:61], v[44:45], -v[60:61]
	v_add_f64 v[62:63], v[46:47], -v[62:63]
	v_add_f64 v[44:45], v[72:73], v[44:45]
	v_add_f64 v[46:47], v[74:75], v[46:47]
	v_mul_f64 v[40:41], v[40:41], s[14:15]
	v_mul_f64 v[42:43], v[42:43], s[14:15]
	v_add_f64 v[8:9], v[8:9], v[56:57]
	v_add_f64 v[10:11], v[10:11], v[58:59]
	v_mul_f64 v[64:65], v[48:49], s[4:5]
	v_mul_f64 v[66:67], v[50:51], s[4:5]
	;; [unrolled: 1-line block ×6, first 2 shown]
	v_fma_f64 v[56:57], v[56:57], s[16:17], v[8:9]
	v_fma_f64 v[58:59], v[58:59], s[16:17], v[10:11]
	;; [unrolled: 1-line block ×4, first 2 shown]
	v_fma_f64 v[64:65], v[68:69], s[6:7], -v[64:65]
	v_fma_f64 v[66:67], v[70:71], s[6:7], -v[66:67]
	;; [unrolled: 1-line block ×4, first 2 shown]
	v_fma_f64 v[68:69], v[60:61], s[22:23], v[72:73]
	v_fma_f64 v[70:71], v[62:63], s[22:23], v[74:75]
	v_fma_f64 v[52:53], v[52:53], s[0:1], -v[72:73]
	v_fma_f64 v[54:55], v[54:55], s[0:1], -v[74:75]
	;; [unrolled: 1-line block ×4, first 2 shown]
	v_add_f64 v[72:73], v[48:49], v[56:57]
	v_add_f64 v[74:75], v[50:51], v[58:59]
	;; [unrolled: 1-line block ×6, first 2 shown]
	v_fma_f64 v[68:69], v[44:45], s[18:19], v[68:69]
	v_fma_f64 v[70:71], v[46:47], s[18:19], v[70:71]
	v_fma_f64 v[76:77], v[44:45], s[18:19], v[52:53]
	v_fma_f64 v[52:53], v[46:47], s[18:19], v[54:55]
	v_fma_f64 v[60:61], v[44:45], s[18:19], v[60:61]
	v_fma_f64 v[62:63], v[46:47], s[18:19], v[62:63]
	s_waitcnt vmcnt(0)
	s_barrier
	v_add_f64 v[42:43], v[74:75], -v[68:69]
	v_add_f64 v[40:41], v[70:71], v[72:73]
	v_add_f64 v[50:51], v[76:77], v[66:67]
	v_add_f64 v[48:49], v[64:65], -v[52:53]
	v_add_f64 v[46:47], v[58:59], -v[60:61]
	v_add_f64 v[44:45], v[62:63], v[56:57]
	v_add_f64 v[52:53], v[52:53], v[64:65]
	v_add_f64 v[54:55], v[66:67], -v[76:77]
	v_add_f64 v[56:57], v[56:57], -v[62:63]
	v_add_f64 v[58:59], v[60:61], v[58:59]
	v_add_f64 v[60:61], v[72:73], -v[70:71]
	v_add_f64 v[62:63], v[68:69], v[74:75]
	ds_write_b128 v215, v[12:15]
	ds_write_b128 v215, v[16:19] offset:272
	ds_write_b128 v215, v[20:23] offset:544
	;; [unrolled: 1-line block ×6, first 2 shown]
	ds_write_b128 v213, v[8:11]
	ds_write_b128 v213, v[40:43] offset:272
	ds_write_b128 v213, v[44:47] offset:544
	;; [unrolled: 1-line block ×6, first 2 shown]
	s_and_saveexec_b64 s[26:27], vcc
	s_cbranch_execz .LBB0_9
; %bb.8:
	buffer_load_dword v54, off, s[60:63], 0 offset:48 ; 4-byte Folded Reload
	buffer_load_dword v55, off, s[60:63], 0 offset:52 ; 4-byte Folded Reload
	;; [unrolled: 1-line block ×16, first 2 shown]
	buffer_load_dword v42, off, s[60:63], 0 ; 4-byte Folded Reload
	buffer_load_dword v43, off, s[60:63], 0 offset:4 ; 4-byte Folded Reload
	buffer_load_dword v44, off, s[60:63], 0 offset:8 ; 4-byte Folded Reload
	;; [unrolled: 1-line block ×11, first 2 shown]
	v_mul_f64 v[8:9], v[82:83], v[6:7]
	v_mul_f64 v[22:23], v[82:83], v[4:5]
	v_fma_f64 v[4:5], v[80:81], v[4:5], v[8:9]
	v_fma_f64 v[6:7], v[80:81], v[6:7], -v[22:23]
	s_waitcnt vmcnt(24)
	v_mul_f64 v[10:11], v[86:87], v[56:57]
	s_waitcnt vmcnt(16)
	v_mul_f64 v[12:13], v[36:37], v[48:49]
	;; [unrolled: 2-line block ×5, first 2 shown]
	v_mul_f64 v[20:21], v[86:87], v[54:55]
	v_mul_f64 v[24:25], v[90:91], v[50:51]
	;; [unrolled: 1-line block ×3, first 2 shown]
	v_fma_f64 v[8:9], v[84:85], v[54:55], v[10:11]
	v_fma_f64 v[12:13], v[34:35], v[46:47], v[12:13]
	;; [unrolled: 1-line block ×5, first 2 shown]
	v_fma_f64 v[18:19], v[84:85], v[56:57], -v[20:21]
	v_fma_f64 v[20:21], v[88:89], v[52:53], -v[24:25]
	;; [unrolled: 1-line block ×3, first 2 shown]
	v_mul_f64 v[2:3], v[40:41], v[42:43]
	v_mul_f64 v[24:25], v[36:37], v[46:47]
	v_add_f64 v[10:11], v[12:13], -v[14:15]
	v_add_f64 v[12:13], v[14:15], v[12:13]
	v_add_f64 v[26:27], v[0:1], -v[16:17]
	v_add_f64 v[28:29], v[6:7], v[18:19]
	v_add_f64 v[6:7], v[6:7], -v[18:19]
	v_add_f64 v[30:31], v[22:23], v[20:21]
	v_fma_f64 v[32:33], v[38:39], v[44:45], -v[2:3]
	v_fma_f64 v[24:25], v[34:35], v[48:49], -v[24:25]
	v_add_f64 v[34:35], v[4:5], -v[8:9]
	v_add_f64 v[4:5], v[4:5], v[8:9]
	v_add_f64 v[2:3], v[10:11], -v[26:27]
	v_add_f64 v[8:9], v[0:1], v[16:17]
	v_add_f64 v[0:1], v[10:11], v[26:27]
	v_add_f64 v[36:37], v[30:31], v[28:29]
	v_add_f64 v[20:21], v[22:23], -v[20:21]
	v_add_f64 v[38:39], v[32:33], v[24:25]
	v_add_f64 v[40:41], v[34:35], -v[10:11]
	v_add_f64 v[24:25], v[24:25], -v[32:33]
	v_mul_f64 v[16:17], v[2:3], s[12:13]
	v_add_f64 v[14:15], v[8:9], v[4:5]
	v_add_f64 v[42:43], v[0:1], v[34:35]
	v_add_f64 v[22:23], v[4:5], -v[12:13]
	v_add_f64 v[46:47], v[20:21], -v[6:7]
	v_add_f64 v[10:11], v[38:39], v[36:37]
	v_add_f64 v[0:1], v[28:29], -v[38:39]
	v_add_f64 v[38:39], v[38:39], -v[30:31]
	v_fma_f64 v[36:37], v[40:41], s[22:23], v[16:17]
	v_add_f64 v[14:15], v[12:13], v[14:15]
	v_add_f64 v[44:45], v[24:25], -v[20:21]
	v_mul_f64 v[22:23], v[22:23], s[14:15]
	v_add_f64 v[12:13], v[12:13], -v[8:9]
	v_add_f64 v[2:3], v[226:227], v[10:11]
	v_add_f64 v[26:27], v[26:27], -v[34:35]
	v_mul_f64 v[18:19], v[38:39], s[4:5]
	v_fma_f64 v[32:33], v[42:43], s[18:19], v[36:37]
	v_mul_f64 v[36:37], v[0:1], s[14:15]
	v_add_f64 v[0:1], v[224:225], v[14:15]
	v_add_f64 v[20:21], v[24:25], v[20:21]
	v_add_f64 v[28:29], v[30:31], -v[28:29]
	v_add_f64 v[4:5], v[8:9], -v[4:5]
	v_mul_f64 v[8:9], v[46:47], s[0:1]
	v_fma_f64 v[10:11], v[10:11], s[16:17], v[2:3]
	v_mul_f64 v[44:45], v[44:45], s[12:13]
	v_fma_f64 v[34:35], v[38:39], s[4:5], v[36:37]
	v_add_f64 v[38:39], v[6:7], -v[24:25]
	v_fma_f64 v[14:15], v[14:15], s[16:17], v[0:1]
	v_fma_f64 v[24:25], v[12:13], s[4:5], v[22:23]
	v_add_f64 v[20:21], v[20:21], v[6:7]
	v_mul_f64 v[6:7], v[12:13], s[4:5]
	v_fma_f64 v[36:37], v[28:29], s[20:21], -v[36:37]
	v_fma_f64 v[22:23], v[4:5], s[20:21], -v[22:23]
	v_mul_f64 v[48:49], v[26:27], s[0:1]
	v_fma_f64 v[8:9], v[38:39], s[24:25], -v[8:9]
	v_fma_f64 v[30:31], v[38:39], s[22:23], v[44:45]
	v_fma_f64 v[18:19], v[28:29], s[6:7], -v[18:19]
	v_fma_f64 v[16:17], v[26:27], s[0:1], -v[16:17]
	v_add_f64 v[34:35], v[34:35], v[10:11]
	v_add_f64 v[26:27], v[36:37], v[10:11]
	;; [unrolled: 1-line block ×3, first 2 shown]
	v_fma_f64 v[22:23], v[46:47], s[0:1], -v[44:45]
	v_fma_f64 v[36:37], v[20:21], s[18:19], v[8:9]
	v_fma_f64 v[8:9], v[4:5], s[6:7], -v[6:7]
	v_fma_f64 v[12:13], v[40:41], s[24:25], -v[48:49]
	v_fma_f64 v[30:31], v[20:21], s[18:19], v[30:31]
	v_add_f64 v[24:25], v[24:25], v[14:15]
	v_add_f64 v[18:19], v[18:19], v[10:11]
	v_fma_f64 v[16:17], v[42:43], s[18:19], v[16:17]
	v_fma_f64 v[40:41], v[20:21], s[18:19], v[22:23]
	v_add_f64 v[20:21], v[36:37], v[28:29]
	v_add_f64 v[38:39], v[8:9], v[14:15]
	v_add_f64 v[8:9], v[28:29], -v[36:37]
	buffer_load_dword v28, off, s[60:63], 0 offset:348 ; 4-byte Folded Reload
	buffer_load_dword v29, off, s[60:63], 0 offset:352 ; 4-byte Folded Reload
	v_fma_f64 v[12:13], v[42:43], s[18:19], v[12:13]
	v_add_f64 v[4:5], v[24:25], -v[30:31]
	v_add_f64 v[24:25], v[30:31], v[24:25]
	v_add_f64 v[14:15], v[18:19], -v[16:17]
	v_add_f64 v[18:19], v[16:17], v[18:19]
	v_add_f64 v[16:17], v[38:39], -v[40:41]
	s_movk_i32 s0, 0x77
	v_add_f64 v[6:7], v[32:33], v[34:35]
	v_add_f64 v[10:11], v[12:13], v[26:27]
	v_add_f64 v[22:23], v[26:27], -v[12:13]
	v_add_f64 v[26:27], v[34:35], -v[32:33]
	v_add_f64 v[12:13], v[40:41], v[38:39]
	s_waitcnt vmcnt(0)
	v_mad_legacy_u16 v28, v28, s0, v29
	v_lshlrev_b32_e32 v28, 4, v28
	ds_write_b128 v28, v[0:3]
	ds_write_b128 v28, v[24:27] offset:272
	ds_write_b128 v28, v[20:23] offset:544
	;; [unrolled: 1-line block ×6, first 2 shown]
.LBB0_9:
	s_or_b64 exec, exec, s[26:27]
	s_waitcnt lgkmcnt(0)
	s_barrier
	ds_read_b128 v[0:3], v212 offset:1904
	ds_read_b128 v[42:45], v212
	ds_read_b128 v[4:7], v212 offset:3808
	ds_read_b128 v[8:11], v212 offset:5712
	s_mov_b32 s16, 0x5d8e7cdc
	s_waitcnt lgkmcnt(3)
	v_mul_f64 v[12:13], v[178:179], v[2:3]
	v_mul_f64 v[14:15], v[178:179], v[0:1]
	s_waitcnt lgkmcnt(1)
	v_mul_f64 v[16:17], v[174:175], v[6:7]
	v_mul_f64 v[18:19], v[174:175], v[4:5]
	s_mov_b32 s6, 0x370991
	s_mov_b32 s17, 0xbfd71e95
	;; [unrolled: 1-line block ×4, first 2 shown]
	v_fma_f64 v[66:67], v[176:177], v[0:1], v[12:13]
	v_fma_f64 v[68:69], v[176:177], v[2:3], -v[14:15]
	s_waitcnt lgkmcnt(0)
	v_mul_f64 v[12:13], v[150:151], v[10:11]
	v_mul_f64 v[14:15], v[150:151], v[8:9]
	v_fma_f64 v[72:73], v[172:173], v[4:5], v[16:17]
	v_fma_f64 v[74:75], v[172:173], v[6:7], -v[18:19]
	ds_read_b128 v[0:3], v212 offset:7616
	ds_read_b128 v[4:7], v212 offset:9520
	v_add_f64 v[16:17], v[42:43], v[66:67]
	v_add_f64 v[18:19], v[44:45], v[68:69]
	v_fma_f64 v[40:41], v[148:149], v[8:9], v[12:13]
	s_waitcnt lgkmcnt(1)
	v_mul_f64 v[20:21], v[142:143], v[2:3]
	v_mul_f64 v[22:23], v[142:143], v[0:1]
	v_fma_f64 v[76:77], v[148:149], v[10:11], -v[14:15]
	s_waitcnt lgkmcnt(0)
	v_mul_f64 v[24:25], v[190:191], v[6:7]
	v_mul_f64 v[26:27], v[190:191], v[4:5]
	v_add_f64 v[16:17], v[16:17], v[72:73]
	v_add_f64 v[18:19], v[18:19], v[74:75]
	ds_read_b128 v[8:11], v212 offset:11424
	ds_read_b128 v[12:15], v212 offset:13328
	v_fma_f64 v[32:33], v[140:141], v[0:1], v[20:21]
	v_fma_f64 v[34:35], v[140:141], v[2:3], -v[22:23]
	ds_read_b128 v[0:3], v212 offset:15232
	ds_read_b128 v[20:23], v212 offset:17136
	s_waitcnt lgkmcnt(3)
	v_mul_f64 v[46:47], v[158:159], v[10:11]
	v_mul_f64 v[48:49], v[158:159], v[8:9]
	v_add_f64 v[16:17], v[16:17], v[40:41]
	v_add_f64 v[18:19], v[18:19], v[76:77]
	v_fma_f64 v[24:25], v[188:189], v[4:5], v[24:25]
	v_fma_f64 v[26:27], v[188:189], v[6:7], -v[26:27]
	s_waitcnt lgkmcnt(2)
	v_mul_f64 v[54:55], v[154:155], v[14:15]
	v_mul_f64 v[56:57], v[154:155], v[12:13]
	s_waitcnt lgkmcnt(1)
	v_mul_f64 v[70:71], v[146:147], v[2:3]
	v_mul_f64 v[78:79], v[146:147], v[0:1]
	v_add_f64 v[4:5], v[16:17], v[32:33]
	v_add_f64 v[6:7], v[18:19], v[34:35]
	v_fma_f64 v[16:17], v[156:157], v[8:9], v[46:47]
	v_fma_f64 v[18:19], v[156:157], v[10:11], -v[48:49]
	v_fma_f64 v[8:9], v[152:153], v[12:13], v[54:55]
	v_fma_f64 v[10:11], v[152:153], v[14:15], -v[56:57]
	s_waitcnt lgkmcnt(0)
	v_mul_f64 v[12:13], v[206:207], v[22:23]
	v_mul_f64 v[14:15], v[206:207], v[20:21]
	v_add_f64 v[4:5], v[4:5], v[24:25]
	v_add_f64 v[6:7], v[6:7], v[26:27]
	v_fma_f64 v[0:1], v[144:145], v[0:1], v[70:71]
	v_fma_f64 v[2:3], v[144:145], v[2:3], -v[78:79]
	ds_read_b128 v[28:31], v212 offset:19040
	ds_read_b128 v[36:39], v212 offset:20944
	;; [unrolled: 1-line block ×7, first 2 shown]
	s_mov_b32 s15, 0x3fd71e95
	v_add_f64 v[4:5], v[4:5], v[16:17]
	v_add_f64 v[6:7], v[6:7], v[18:19]
	s_waitcnt lgkmcnt(6)
	v_mul_f64 v[80:81], v[170:171], v[30:31]
	v_mul_f64 v[82:83], v[170:171], v[28:29]
	s_waitcnt lgkmcnt(0)
	v_mul_f64 v[86:87], v[194:195], v[62:63]
	v_mul_f64 v[84:85], v[186:187], v[56:57]
	;; [unrolled: 1-line block ×3, first 2 shown]
	s_mov_b32 s1, 0xbfe58eea
	v_add_f64 v[70:71], v[4:5], v[8:9]
	v_add_f64 v[78:79], v[6:7], v[10:11]
	v_fma_f64 v[4:5], v[204:205], v[20:21], v[12:13]
	v_fma_f64 v[6:7], v[204:205], v[22:23], -v[14:15]
	v_fma_f64 v[12:13], v[168:169], v[28:29], v[80:81]
	v_fma_f64 v[14:15], v[168:169], v[30:31], -v[82:83]
	v_mul_f64 v[80:81], v[162:163], v[48:49]
	v_mul_f64 v[82:83], v[162:163], v[46:47]
	v_add_f64 v[20:21], v[70:71], v[0:1]
	v_add_f64 v[22:23], v[78:79], v[2:3]
	v_mul_f64 v[70:71], v[166:167], v[38:39]
	v_mul_f64 v[78:79], v[166:167], v[36:37]
	s_mov_b32 s14, s16
	s_mov_b32 s20, 0x75d4884
	;; [unrolled: 1-line block ×4, first 2 shown]
	v_add_f64 v[28:29], v[20:21], v[4:5]
	v_add_f64 v[30:31], v[22:23], v[6:7]
	v_fma_f64 v[20:21], v[164:165], v[36:37], v[70:71]
	v_fma_f64 v[22:23], v[164:165], v[38:39], -v[78:79]
	v_mul_f64 v[70:71], v[218:219], v[52:53]
	v_mul_f64 v[78:79], v[218:219], v[50:51]
	s_mov_b32 s4, 0xeb564b22
	s_mov_b32 s12, 0x3259b75e
	v_add_f64 v[36:37], v[28:29], v[12:13]
	v_add_f64 v[38:39], v[30:31], v[14:15]
	v_fma_f64 v[28:29], v[160:161], v[46:47], v[80:81]
	v_fma_f64 v[30:31], v[160:161], v[48:49], -v[82:83]
	v_mul_f64 v[80:81], v[186:187], v[54:55]
	v_mul_f64 v[82:83], v[194:195], v[64:65]
	v_fma_f64 v[64:65], v[192:193], v[64:65], -v[86:87]
	v_fma_f64 v[54:55], v[184:185], v[54:55], v[84:85]
	v_add_f64 v[46:47], v[36:37], v[20:21]
	v_add_f64 v[48:49], v[38:39], v[22:23]
	v_fma_f64 v[36:37], v[216:217], v[50:51], v[70:71]
	v_fma_f64 v[38:39], v[216:217], v[52:53], -v[78:79]
	v_mul_f64 v[50:51], v[182:183], v[58:59]
	v_fma_f64 v[52:53], v[192:193], v[62:63], v[82:83]
	v_add_f64 v[62:63], v[68:69], -v[64:65]
	v_add_f64 v[78:79], v[68:69], v[64:65]
	v_add_f64 v[46:47], v[46:47], v[28:29]
	;; [unrolled: 1-line block ×3, first 2 shown]
	v_fma_f64 v[56:57], v[184:185], v[56:57], -v[80:81]
	v_fma_f64 v[58:59], v[180:181], v[58:59], v[88:89]
	v_fma_f64 v[50:51], v[180:181], v[60:61], -v[50:51]
	v_add_f64 v[80:81], v[66:67], v[52:53]
	v_add_f64 v[66:67], v[66:67], -v[52:53]
	v_mul_f64 v[68:69], v[62:63], s[16:17]
	v_add_f64 v[46:47], v[46:47], v[36:37]
	v_add_f64 v[48:49], v[48:49], v[38:39]
	v_mul_f64 v[70:71], v[78:79], s[6:7]
	v_mul_f64 v[84:85], v[62:63], s[0:1]
	s_mov_b32 s28, 0x923c349f
	s_mov_b32 s34, 0xc61f0d01
	;; [unrolled: 1-line block ×3, first 2 shown]
	v_fma_f64 v[60:61], v[80:81], s[6:7], v[68:69]
	v_add_f64 v[46:47], v[46:47], v[54:55]
	v_add_f64 v[48:49], v[48:49], v[56:57]
	v_fma_f64 v[82:83], v[66:67], s[14:15], v[70:71]
	v_fma_f64 v[68:69], v[80:81], s[6:7], -v[68:69]
	v_fma_f64 v[70:71], v[66:67], s[16:17], v[70:71]
	s_mov_b32 s40, 0x6ed5f1bb
	s_mov_b32 s44, 0x4363dd80
	;; [unrolled: 1-line block ×3, first 2 shown]
	v_add_f64 v[46:47], v[46:47], v[58:59]
	v_add_f64 v[48:49], v[48:49], v[50:51]
	s_mov_b32 s50, 0xacd6c6b4
	s_mov_b32 s52, 0x7faef3
	;; [unrolled: 1-line block ×15, first 2 shown]
	v_mul_f64 v[86:87], v[78:79], s[20:21]
	v_add_f64 v[88:89], v[42:43], v[68:69]
	v_add_f64 v[90:91], v[44:45], v[70:71]
	;; [unrolled: 1-line block ×4, first 2 shown]
	v_fma_f64 v[46:47], v[80:81], s[20:21], v[84:85]
	v_fma_f64 v[52:53], v[80:81], s[20:21], -v[84:85]
	v_mul_f64 v[64:65], v[62:63], s[22:23]
	v_mul_f64 v[84:85], v[78:79], s[24:25]
	;; [unrolled: 1-line block ×11, first 2 shown]
	v_add_f64 v[128:129], v[74:75], v[50:51]
	v_add_f64 v[50:51], v[74:75], -v[50:51]
	v_mul_f64 v[74:75], v[78:79], s[52:53]
	s_mov_b32 s31, 0x3fe58eea
	s_mov_b32 s30, s0
	;; [unrolled: 1-line block ×14, first 2 shown]
	v_fma_f64 v[48:49], v[66:67], s[30:31], v[86:87]
	v_fma_f64 v[86:87], v[66:67], s[0:1], v[86:87]
	v_fma_f64 v[92:93], v[80:81], s[24:25], v[64:65]
	v_fma_f64 v[94:95], v[66:67], s[26:27], v[84:85]
	v_fma_f64 v[64:65], v[80:81], s[24:25], -v[64:65]
	v_fma_f64 v[84:85], v[66:67], s[22:23], v[84:85]
	v_fma_f64 v[98:99], v[80:81], s[12:13], v[96:97]
	v_fma_f64 v[106:107], v[66:67], s[18:19], v[100:101]
	v_fma_f64 v[96:97], v[80:81], s[12:13], -v[96:97]
	v_fma_f64 v[100:101], v[66:67], s[4:5], v[100:101]
	v_fma_f64 v[108:109], v[80:81], s[34:35], v[102:103]
	v_fma_f64 v[110:111], v[66:67], s[36:37], v[104:105]
	;; [unrolled: 4-line block ×4, first 2 shown]
	v_fma_f64 v[118:119], v[80:81], s[46:47], -v[118:119]
	v_fma_f64 v[120:121], v[66:67], s[44:45], v[120:121]
	v_fma_f64 v[78:79], v[80:81], s[52:53], v[62:63]
	v_add_f64 v[130:131], v[72:73], v[58:59]
	v_add_f64 v[58:59], v[72:73], -v[58:59]
	v_mul_f64 v[72:73], v[50:51], s[0:1]
	v_mul_f64 v[132:133], v[128:129], s[20:21]
	v_fma_f64 v[134:135], v[66:67], s[54:55], v[74:75]
	v_fma_f64 v[62:63], v[80:81], s[52:53], -v[62:63]
	v_fma_f64 v[66:67], v[66:67], s[50:51], v[74:75]
	v_add_f64 v[60:61], v[42:43], v[60:61]
	v_add_f64 v[82:83], v[44:45], v[82:83]
	;; [unrolled: 1-line block ×26, first 2 shown]
	v_fma_f64 v[118:119], v[130:131], s[20:21], v[72:73]
	v_fma_f64 v[120:121], v[58:59], s[30:31], v[132:133]
	v_add_f64 v[78:79], v[42:43], v[78:79]
	v_add_f64 v[134:135], v[44:45], v[134:135]
	;; [unrolled: 1-line block ×4, first 2 shown]
	v_mul_f64 v[62:63], v[50:51], s[4:5]
	v_mul_f64 v[66:67], v[128:129], s[12:13]
	v_add_f64 v[60:61], v[118:119], v[60:61]
	v_add_f64 v[82:83], v[120:121], v[82:83]
	v_fma_f64 v[72:73], v[130:131], s[20:21], -v[72:73]
	v_fma_f64 v[118:119], v[58:59], s[0:1], v[132:133]
	v_mul_f64 v[120:121], v[50:51], s[38:39]
	v_mul_f64 v[132:133], v[128:129], s[40:41]
	v_fma_f64 v[136:137], v[130:131], s[12:13], v[62:63]
	v_fma_f64 v[138:139], v[58:59], s[18:19], v[66:67]
	v_fma_f64 v[62:63], v[130:131], s[12:13], -v[62:63]
	v_fma_f64 v[66:67], v[58:59], s[4:5], v[66:67]
	v_add_f64 v[72:73], v[72:73], v[88:89]
	v_add_f64 v[88:89], v[118:119], v[90:91]
	v_fma_f64 v[90:91], v[130:131], s[40:41], v[120:121]
	v_fma_f64 v[118:119], v[58:59], s[42:43], v[132:133]
	v_add_f64 v[46:47], v[136:137], v[46:47]
	v_add_f64 v[48:49], v[138:139], v[48:49]
	;; [unrolled: 1-line block ×4, first 2 shown]
	v_mul_f64 v[86:87], v[128:129], s[52:53]
	v_mul_f64 v[66:67], v[50:51], s[50:51]
	v_add_f64 v[90:91], v[90:91], v[92:93]
	v_add_f64 v[92:93], v[118:119], v[94:95]
	v_fma_f64 v[94:95], v[130:131], s[40:41], -v[120:121]
	v_fma_f64 v[118:119], v[58:59], s[38:39], v[132:133]
	v_mul_f64 v[120:121], v[50:51], s[48:49]
	v_mul_f64 v[132:133], v[128:129], s[46:47]
	v_fma_f64 v[138:139], v[58:59], s[54:55], v[86:87]
	v_fma_f64 v[86:87], v[58:59], s[50:51], v[86:87]
	;; [unrolled: 1-line block ×3, first 2 shown]
	v_fma_f64 v[66:67], v[130:131], s[52:53], -v[66:67]
	v_add_f64 v[64:65], v[94:95], v[64:65]
	v_add_f64 v[84:85], v[118:119], v[84:85]
	v_fma_f64 v[94:95], v[130:131], s[46:47], v[120:121]
	v_fma_f64 v[118:119], v[58:59], s[44:45], v[132:133]
	v_add_f64 v[106:107], v[138:139], v[106:107]
	v_add_f64 v[86:87], v[86:87], v[100:101]
	v_mul_f64 v[100:101], v[128:129], s[34:35]
	v_add_f64 v[66:67], v[66:67], v[96:97]
	v_mul_f64 v[96:97], v[50:51], s[36:37]
	v_fma_f64 v[120:121], v[130:131], s[46:47], -v[120:121]
	v_add_f64 v[94:95], v[94:95], v[108:109]
	v_add_f64 v[108:109], v[118:119], v[110:111]
	v_mul_f64 v[110:111], v[50:51], s[26:27]
	v_mul_f64 v[118:119], v[128:129], s[24:25]
	v_fma_f64 v[138:139], v[58:59], s[28:29], v[100:101]
	v_add_f64 v[98:99], v[136:137], v[98:99]
	v_fma_f64 v[136:137], v[130:131], s[34:35], v[96:97]
	v_fma_f64 v[96:97], v[130:131], s[34:35], -v[96:97]
	v_fma_f64 v[100:101], v[58:59], s[36:37], v[100:101]
	v_add_f64 v[102:103], v[120:121], v[102:103]
	v_fma_f64 v[140:141], v[130:131], s[24:25], v[110:111]
	v_fma_f64 v[142:143], v[58:59], s[22:23], v[118:119]
	v_add_f64 v[120:121], v[138:139], v[122:123]
	v_add_f64 v[122:123], v[76:77], -v[56:57]
	v_add_f64 v[56:57], v[76:77], v[56:57]
	v_fma_f64 v[132:133], v[58:59], s[48:49], v[132:133]
	v_add_f64 v[96:97], v[96:97], v[112:113]
	v_add_f64 v[100:101], v[100:101], v[116:117]
	;; [unrolled: 1-line block ×4, first 2 shown]
	v_mul_f64 v[50:51], v[50:51], s[14:15]
	v_mul_f64 v[76:77], v[128:129], s[6:7]
	v_fma_f64 v[110:111], v[130:131], s[24:25], -v[110:111]
	v_fma_f64 v[118:119], v[58:59], s[26:27], v[118:119]
	v_add_f64 v[124:125], v[40:41], v[54:55]
	v_add_f64 v[40:41], v[40:41], -v[54:55]
	v_mul_f64 v[54:55], v[122:123], s[22:23]
	v_mul_f64 v[126:127], v[56:57], s[24:25]
	v_add_f64 v[104:105], v[132:133], v[104:105]
	v_fma_f64 v[128:129], v[130:131], s[6:7], v[50:51]
	v_fma_f64 v[132:133], v[58:59], s[16:17], v[76:77]
	v_fma_f64 v[50:51], v[130:131], s[6:7], -v[50:51]
	v_fma_f64 v[58:59], v[58:59], s[14:15], v[76:77]
	v_add_f64 v[74:75], v[110:111], v[74:75]
	v_add_f64 v[76:77], v[118:119], v[80:81]
	v_fma_f64 v[80:81], v[124:125], s[24:25], v[54:55]
	v_fma_f64 v[110:111], v[40:41], s[26:27], v[126:127]
	v_fma_f64 v[54:55], v[124:125], s[24:25], -v[54:55]
	v_add_f64 v[78:79], v[128:129], v[78:79]
	v_add_f64 v[42:43], v[50:51], v[42:43]
	;; [unrolled: 1-line block ×3, first 2 shown]
	v_mul_f64 v[50:51], v[122:123], s[38:39]
	v_mul_f64 v[58:59], v[56:57], s[40:41]
	v_add_f64 v[60:61], v[80:81], v[60:61]
	v_add_f64 v[80:81], v[110:111], v[82:83]
	v_fma_f64 v[82:83], v[40:41], s[22:23], v[126:127]
	v_mul_f64 v[110:111], v[122:123], s[54:55]
	v_mul_f64 v[126:127], v[56:57], s[52:53]
	v_add_f64 v[54:55], v[54:55], v[72:73]
	v_fma_f64 v[128:129], v[124:125], s[40:41], v[50:51]
	v_fma_f64 v[130:131], v[40:41], s[42:43], v[58:59]
	v_fma_f64 v[50:51], v[124:125], s[40:41], -v[50:51]
	v_fma_f64 v[58:59], v[40:41], s[38:39], v[58:59]
	v_add_f64 v[72:73], v[82:83], v[88:89]
	v_fma_f64 v[82:83], v[124:125], s[52:53], v[110:111]
	v_fma_f64 v[88:89], v[40:41], s[50:51], v[126:127]
	v_add_f64 v[118:119], v[132:133], v[134:135]
	v_add_f64 v[46:47], v[128:129], v[46:47]
	;; [unrolled: 1-line block ×5, first 2 shown]
	v_mul_f64 v[58:59], v[122:123], s[36:37]
	v_add_f64 v[82:83], v[82:83], v[90:91]
	v_fma_f64 v[90:91], v[124:125], s[52:53], -v[110:111]
	v_mul_f64 v[110:111], v[122:123], s[30:31]
	v_mul_f64 v[62:63], v[56:57], s[34:35]
	v_add_f64 v[88:89], v[88:89], v[92:93]
	v_fma_f64 v[92:93], v[40:41], s[54:55], v[126:127]
	v_mul_f64 v[126:127], v[56:57], s[20:21]
	v_fma_f64 v[128:129], v[124:125], s[34:35], v[58:59]
	v_fma_f64 v[58:59], v[124:125], s[34:35], -v[58:59]
	v_add_f64 v[64:65], v[90:91], v[64:65]
	v_fma_f64 v[90:91], v[124:125], s[20:21], v[110:111]
	v_fma_f64 v[130:131], v[40:41], s[28:29], v[62:63]
	;; [unrolled: 1-line block ×3, first 2 shown]
	v_add_f64 v[84:85], v[92:93], v[84:85]
	v_fma_f64 v[92:93], v[40:41], s[0:1], v[126:127]
	v_add_f64 v[98:99], v[128:129], v[98:99]
	v_add_f64 v[58:59], v[58:59], v[66:67]
	v_mul_f64 v[66:67], v[122:123], s[16:17]
	v_add_f64 v[90:91], v[90:91], v[94:95]
	v_mul_f64 v[94:95], v[122:123], s[4:5]
	;; [unrolled: 2-line block ×4, first 2 shown]
	v_add_f64 v[114:115], v[136:137], v[114:115]
	v_fma_f64 v[128:129], v[124:125], s[6:7], v[66:67]
	v_fma_f64 v[66:67], v[124:125], s[6:7], -v[66:67]
	v_fma_f64 v[132:133], v[124:125], s[12:13], v[94:95]
	v_add_f64 v[106:107], v[130:131], v[106:107]
	v_fma_f64 v[110:111], v[124:125], s[20:21], -v[110:111]
	v_fma_f64 v[130:131], v[40:41], s[14:15], v[86:87]
	v_fma_f64 v[86:87], v[40:41], s[16:17], v[86:87]
	;; [unrolled: 1-line block ×4, first 2 shown]
	v_add_f64 v[66:67], v[66:67], v[96:97]
	v_add_f64 v[96:97], v[132:133], v[112:113]
	v_add_f64 v[112:113], v[34:35], -v[38:39]
	v_add_f64 v[34:35], v[34:35], v[38:39]
	v_add_f64 v[102:103], v[110:111], v[102:103]
	;; [unrolled: 1-line block ×6, first 2 shown]
	v_mul_f64 v[38:39], v[122:123], s[44:45]
	v_mul_f64 v[56:57], v[56:57], s[46:47]
	v_fma_f64 v[94:95], v[124:125], s[12:13], -v[94:95]
	v_fma_f64 v[108:109], v[40:41], s[4:5], v[108:109]
	v_add_f64 v[116:117], v[32:33], v[36:37]
	v_add_f64 v[32:33], v[32:33], -v[36:37]
	v_mul_f64 v[36:37], v[112:113], s[4:5]
	v_mul_f64 v[120:121], v[34:35], s[12:13]
	v_add_f64 v[104:105], v[126:127], v[104:105]
	v_fma_f64 v[122:123], v[124:125], s[46:47], v[38:39]
	v_fma_f64 v[126:127], v[40:41], s[48:49], v[56:57]
	v_fma_f64 v[38:39], v[124:125], s[46:47], -v[38:39]
	v_fma_f64 v[40:41], v[40:41], s[44:45], v[56:57]
	v_add_f64 v[56:57], v[94:95], v[74:75]
	v_add_f64 v[74:75], v[108:109], v[76:77]
	v_fma_f64 v[76:77], v[116:117], s[12:13], v[36:37]
	v_fma_f64 v[94:95], v[32:33], s[18:19], v[120:121]
	v_fma_f64 v[36:37], v[116:117], s[12:13], -v[36:37]
	v_add_f64 v[108:109], v[126:127], v[118:119]
	v_add_f64 v[38:39], v[38:39], v[42:43]
	v_mul_f64 v[42:43], v[112:113], s[50:51]
	v_mul_f64 v[118:119], v[34:35], s[34:35]
	v_add_f64 v[40:41], v[40:41], v[44:45]
	v_add_f64 v[60:61], v[76:77], v[60:61]
	;; [unrolled: 1-line block ×3, first 2 shown]
	v_fma_f64 v[80:81], v[32:33], s[4:5], v[120:121]
	v_mul_f64 v[94:95], v[112:113], s[36:37]
	v_mul_f64 v[44:45], v[34:35], s[52:53]
	v_fma_f64 v[120:121], v[116:117], s[52:53], v[42:43]
	v_fma_f64 v[42:43], v[116:117], s[52:53], -v[42:43]
	v_add_f64 v[36:37], v[36:37], v[54:55]
	v_add_f64 v[78:79], v[122:123], v[78:79]
	;; [unrolled: 1-line block ×3, first 2 shown]
	v_fma_f64 v[72:73], v[116:117], s[34:35], v[94:95]
	v_fma_f64 v[80:81], v[32:33], s[28:29], v[118:119]
	v_fma_f64 v[122:123], v[32:33], s[54:55], v[44:45]
	v_fma_f64 v[44:45], v[32:33], s[50:51], v[44:45]
	v_add_f64 v[42:43], v[42:43], v[50:51]
	v_mul_f64 v[50:51], v[112:113], s[14:15]
	v_add_f64 v[46:47], v[120:121], v[46:47]
	v_add_f64 v[72:73], v[72:73], v[82:83]
	;; [unrolled: 1-line block ×3, first 2 shown]
	v_fma_f64 v[82:83], v[116:117], s[34:35], -v[94:95]
	v_fma_f64 v[88:89], v[32:33], s[36:37], v[118:119]
	v_mul_f64 v[94:95], v[112:113], s[22:23]
	v_add_f64 v[44:45], v[44:45], v[52:53]
	v_mul_f64 v[52:53], v[34:35], s[6:7]
	v_mul_f64 v[118:119], v[34:35], s[24:25]
	v_fma_f64 v[120:121], v[116:117], s[6:7], v[50:51]
	v_fma_f64 v[50:51], v[116:117], s[6:7], -v[50:51]
	v_add_f64 v[64:65], v[82:83], v[64:65]
	v_add_f64 v[82:83], v[88:89], v[84:85]
	v_fma_f64 v[84:85], v[116:117], s[24:25], v[94:95]
	v_add_f64 v[48:49], v[122:123], v[48:49]
	v_fma_f64 v[122:123], v[32:33], s[16:17], v[52:53]
	v_fma_f64 v[52:53], v[32:33], s[14:15], v[52:53]
	;; [unrolled: 1-line block ×3, first 2 shown]
	v_add_f64 v[50:51], v[50:51], v[58:59]
	v_mul_f64 v[58:59], v[112:113], s[44:45]
	v_add_f64 v[98:99], v[120:121], v[98:99]
	v_add_f64 v[84:85], v[84:85], v[90:91]
	v_mul_f64 v[90:91], v[112:113], s[42:43]
	v_add_f64 v[106:107], v[122:123], v[106:107]
	;; [unrolled: 3-line block ×3, first 2 shown]
	v_mul_f64 v[92:93], v[34:35], s[40:41]
	v_fma_f64 v[120:121], v[116:117], s[46:47], v[58:59]
	v_fma_f64 v[58:59], v[116:117], s[46:47], -v[58:59]
	v_fma_f64 v[124:125], v[116:117], s[40:41], v[90:91]
	v_fma_f64 v[94:95], v[116:117], s[24:25], -v[94:95]
	v_fma_f64 v[118:119], v[32:33], s[22:23], v[118:119]
	v_fma_f64 v[122:123], v[32:33], s[48:49], v[62:63]
	;; [unrolled: 1-line block ×4, first 2 shown]
	v_mul_f64 v[34:35], v[34:35], s[20:21]
	v_add_f64 v[58:59], v[58:59], v[66:67]
	v_add_f64 v[66:67], v[124:125], v[96:97]
	v_add_f64 v[96:97], v[26:27], -v[30:31]
	v_add_f64 v[26:27], v[26:27], v[30:31]
	v_mul_f64 v[30:31], v[112:113], s[30:31]
	v_add_f64 v[62:63], v[62:63], v[86:87]
	v_add_f64 v[86:87], v[126:127], v[100:101]
	v_fma_f64 v[90:91], v[116:117], s[40:41], -v[90:91]
	v_fma_f64 v[92:93], v[32:33], s[42:43], v[92:93]
	v_add_f64 v[100:101], v[24:25], v[28:29]
	v_add_f64 v[24:25], v[24:25], -v[28:29]
	v_mul_f64 v[28:29], v[96:97], s[28:29]
	v_mul_f64 v[112:113], v[26:27], s[34:35]
	v_add_f64 v[94:95], v[94:95], v[102:103]
	v_add_f64 v[102:103], v[118:119], v[104:105]
	;; [unrolled: 1-line block ×4, first 2 shown]
	v_fma_f64 v[114:115], v[116:117], s[20:21], v[30:31]
	v_fma_f64 v[118:119], v[32:33], s[0:1], v[34:35]
	v_fma_f64 v[30:31], v[116:117], s[20:21], -v[30:31]
	v_fma_f64 v[32:33], v[32:33], s[30:31], v[34:35]
	v_add_f64 v[34:35], v[90:91], v[56:57]
	v_add_f64 v[56:57], v[92:93], v[74:75]
	v_fma_f64 v[74:75], v[100:101], s[34:35], v[28:29]
	v_fma_f64 v[90:91], v[24:25], s[36:37], v[112:113]
	v_fma_f64 v[28:29], v[100:101], s[34:35], -v[28:29]
	v_add_f64 v[92:93], v[118:119], v[108:109]
	v_add_f64 v[30:31], v[30:31], v[38:39]
	v_mul_f64 v[38:39], v[96:97], s[48:49]
	v_mul_f64 v[108:109], v[26:27], s[20:21]
	v_add_f64 v[32:33], v[32:33], v[40:41]
	v_add_f64 v[60:61], v[74:75], v[60:61]
	;; [unrolled: 1-line block ×3, first 2 shown]
	v_fma_f64 v[76:77], v[24:25], s[28:29], v[112:113]
	v_mul_f64 v[90:91], v[96:97], s[30:31]
	v_mul_f64 v[40:41], v[26:27], s[46:47]
	v_fma_f64 v[112:113], v[100:101], s[46:47], v[38:39]
	v_fma_f64 v[38:39], v[100:101], s[46:47], -v[38:39]
	v_add_f64 v[28:29], v[28:29], v[36:37]
	v_add_f64 v[78:79], v[114:115], v[78:79]
	;; [unrolled: 1-line block ×3, first 2 shown]
	v_fma_f64 v[54:55], v[100:101], s[20:21], v[90:91]
	v_fma_f64 v[76:77], v[24:25], s[0:1], v[108:109]
	;; [unrolled: 1-line block ×4, first 2 shown]
	v_add_f64 v[38:39], v[38:39], v[42:43]
	v_mul_f64 v[42:43], v[96:97], s[22:23]
	v_add_f64 v[46:47], v[112:113], v[46:47]
	v_add_f64 v[54:55], v[54:55], v[72:73]
	v_add_f64 v[72:73], v[76:77], v[80:81]
	v_fma_f64 v[76:77], v[100:101], s[20:21], -v[90:91]
	v_fma_f64 v[80:81], v[24:25], s[30:31], v[108:109]
	v_mul_f64 v[90:91], v[96:97], s[50:51]
	v_add_f64 v[40:41], v[40:41], v[44:45]
	v_mul_f64 v[44:45], v[26:27], s[24:25]
	v_mul_f64 v[108:109], v[26:27], s[52:53]
	v_fma_f64 v[112:113], v[100:101], s[24:25], v[42:43]
	v_fma_f64 v[42:43], v[100:101], s[24:25], -v[42:43]
	v_add_f64 v[64:65], v[76:77], v[64:65]
	v_add_f64 v[76:77], v[80:81], v[82:83]
	v_fma_f64 v[80:81], v[100:101], s[52:53], v[90:91]
	v_add_f64 v[48:49], v[114:115], v[48:49]
	v_fma_f64 v[114:115], v[24:25], s[26:27], v[44:45]
	v_fma_f64 v[44:45], v[24:25], s[22:23], v[44:45]
	v_fma_f64 v[82:83], v[24:25], s[54:55], v[108:109]
	v_add_f64 v[42:43], v[42:43], v[50:51]
	v_mul_f64 v[50:51], v[96:97], s[18:19]
	v_add_f64 v[98:99], v[112:113], v[98:99]
	v_add_f64 v[80:81], v[80:81], v[84:85]
	v_mul_f64 v[84:85], v[96:97], s[16:17]
	v_add_f64 v[106:107], v[114:115], v[106:107]
	;; [unrolled: 3-line block ×3, first 2 shown]
	v_mul_f64 v[88:89], v[26:27], s[6:7]
	v_fma_f64 v[112:113], v[100:101], s[12:13], v[50:51]
	v_fma_f64 v[50:51], v[100:101], s[12:13], -v[50:51]
	v_fma_f64 v[116:117], v[100:101], s[6:7], v[84:85]
	v_fma_f64 v[90:91], v[100:101], s[52:53], -v[90:91]
	v_fma_f64 v[108:109], v[24:25], s[50:51], v[108:109]
	v_fma_f64 v[114:115], v[24:25], s[4:5], v[52:53]
	;; [unrolled: 1-line block ×4, first 2 shown]
	v_mul_f64 v[26:27], v[26:27], s[40:41]
	v_add_f64 v[50:51], v[50:51], v[58:59]
	v_add_f64 v[58:59], v[116:117], v[66:67]
	v_add_f64 v[66:67], v[18:19], -v[22:23]
	v_add_f64 v[18:19], v[18:19], v[22:23]
	v_mul_f64 v[22:23], v[96:97], s[38:39]
	v_add_f64 v[52:53], v[52:53], v[62:63]
	v_add_f64 v[62:63], v[118:119], v[86:87]
	v_fma_f64 v[84:85], v[100:101], s[6:7], -v[84:85]
	v_fma_f64 v[86:87], v[24:25], s[16:17], v[88:89]
	v_add_f64 v[88:89], v[16:17], v[20:21]
	v_add_f64 v[16:17], v[16:17], -v[20:21]
	v_mul_f64 v[20:21], v[66:67], s[38:39]
	v_mul_f64 v[96:97], v[18:19], s[40:41]
	v_add_f64 v[90:91], v[90:91], v[94:95]
	v_add_f64 v[94:95], v[108:109], v[102:103]
	v_add_f64 v[102:103], v[112:113], v[104:105]
	v_add_f64 v[104:105], v[114:115], v[110:111]
	v_fma_f64 v[108:109], v[100:101], s[40:41], v[22:23]
	v_fma_f64 v[110:111], v[24:25], s[42:43], v[26:27]
	v_fma_f64 v[22:23], v[100:101], s[40:41], -v[22:23]
	v_fma_f64 v[24:25], v[24:25], s[38:39], v[26:27]
	v_add_f64 v[26:27], v[84:85], v[34:35]
	v_add_f64 v[34:35], v[86:87], v[56:57]
	v_fma_f64 v[56:57], v[88:89], s[40:41], v[20:21]
	v_fma_f64 v[84:85], v[16:17], s[42:43], v[96:97]
	v_fma_f64 v[20:21], v[88:89], s[40:41], -v[20:21]
	v_add_f64 v[86:87], v[110:111], v[92:93]
	v_add_f64 v[22:23], v[22:23], v[30:31]
	v_mul_f64 v[30:31], v[66:67], s[36:37]
	v_mul_f64 v[92:93], v[18:19], s[6:7]
	v_add_f64 v[24:25], v[24:25], v[32:33]
	v_add_f64 v[56:57], v[56:57], v[60:61]
	;; [unrolled: 1-line block ×3, first 2 shown]
	v_fma_f64 v[74:75], v[16:17], s[38:39], v[96:97]
	v_mul_f64 v[84:85], v[66:67], s[16:17]
	v_mul_f64 v[32:33], v[18:19], s[34:35]
	v_fma_f64 v[96:97], v[88:89], s[34:35], v[30:31]
	v_fma_f64 v[30:31], v[88:89], s[34:35], -v[30:31]
	v_add_f64 v[20:21], v[20:21], v[28:29]
	v_add_f64 v[78:79], v[108:109], v[78:79]
	;; [unrolled: 1-line block ×3, first 2 shown]
	v_fma_f64 v[36:37], v[88:89], s[6:7], v[84:85]
	v_fma_f64 v[74:75], v[16:17], s[14:15], v[92:93]
	v_fma_f64 v[100:101], v[16:17], s[28:29], v[32:33]
	v_fma_f64 v[32:33], v[16:17], s[36:37], v[32:33]
	v_add_f64 v[30:31], v[30:31], v[38:39]
	v_mul_f64 v[38:39], v[66:67], s[44:45]
	v_add_f64 v[46:47], v[96:97], v[46:47]
	v_add_f64 v[36:37], v[36:37], v[54:55]
	v_add_f64 v[54:55], v[74:75], v[72:73]
	v_fma_f64 v[72:73], v[88:89], s[6:7], -v[84:85]
	v_fma_f64 v[74:75], v[16:17], s[16:17], v[92:93]
	v_mul_f64 v[84:85], v[66:67], s[18:19]
	v_add_f64 v[32:33], v[32:33], v[40:41]
	v_mul_f64 v[40:41], v[18:19], s[46:47]
	v_fma_f64 v[96:97], v[88:89], s[46:47], v[38:39]
	v_fma_f64 v[38:39], v[88:89], s[46:47], -v[38:39]
	v_add_f64 v[48:49], v[100:101], v[48:49]
	v_add_f64 v[64:65], v[72:73], v[64:65]
	;; [unrolled: 1-line block ×3, first 2 shown]
	v_fma_f64 v[74:75], v[88:89], s[12:13], v[84:85]
	v_mul_f64 v[92:93], v[18:19], s[12:13]
	v_fma_f64 v[100:101], v[16:17], s[48:49], v[40:41]
	v_fma_f64 v[40:41], v[16:17], s[44:45], v[40:41]
	v_add_f64 v[38:39], v[38:39], v[42:43]
	v_mul_f64 v[42:43], v[66:67], s[0:1]
	v_add_f64 v[96:97], v[96:97], v[98:99]
	v_fma_f64 v[84:85], v[88:89], s[12:13], -v[84:85]
	v_add_f64 v[74:75], v[74:75], v[80:81]
	v_mul_f64 v[80:81], v[66:67], s[50:51]
	v_fma_f64 v[76:77], v[16:17], s[4:5], v[92:93]
	v_add_f64 v[98:99], v[100:101], v[106:107]
	v_add_f64 v[40:41], v[40:41], v[44:45]
	v_fma_f64 v[100:101], v[88:89], s[20:21], v[42:43]
	v_fma_f64 v[42:43], v[88:89], s[20:21], -v[42:43]
	v_mul_f64 v[44:45], v[18:19], s[20:21]
	v_fma_f64 v[92:93], v[16:17], s[18:19], v[92:93]
	v_fma_f64 v[108:109], v[88:89], s[52:53], v[80:81]
	v_add_f64 v[76:77], v[76:77], v[82:83]
	v_mul_f64 v[82:83], v[18:19], s[52:53]
	v_add_f64 v[84:85], v[84:85], v[90:91]
	v_mul_f64 v[18:19], v[18:19], s[24:25]
	v_add_f64 v[42:43], v[42:43], v[50:51]
	v_fma_f64 v[106:107], v[16:17], s[30:31], v[44:45]
	v_fma_f64 v[44:45], v[16:17], s[0:1], v[44:45]
	v_add_f64 v[50:51], v[108:109], v[58:59]
	v_add_f64 v[58:59], v[10:11], -v[14:15]
	v_add_f64 v[10:11], v[10:11], v[14:15]
	v_mul_f64 v[14:15], v[66:67], s[26:27]
	v_fma_f64 v[110:111], v[16:17], s[54:55], v[82:83]
	v_add_f64 v[90:91], v[92:93], v[94:95]
	v_add_f64 v[92:93], v[100:101], v[102:103]
	;; [unrolled: 1-line block ×3, first 2 shown]
	v_fma_f64 v[66:67], v[16:17], s[50:51], v[82:83]
	v_fma_f64 v[102:103], v[16:17], s[22:23], v[18:19]
	v_mul_f64 v[82:83], v[10:11], s[46:47]
	v_fma_f64 v[100:101], v[88:89], s[24:25], v[14:15]
	v_fma_f64 v[14:15], v[88:89], s[24:25], -v[14:15]
	v_add_f64 v[52:53], v[110:111], v[62:63]
	v_fma_f64 v[62:63], v[88:89], s[52:53], -v[80:81]
	v_add_f64 v[80:81], v[8:9], v[12:13]
	v_add_f64 v[8:9], v[8:9], -v[12:13]
	v_mul_f64 v[12:13], v[58:59], s[44:45]
	v_fma_f64 v[16:17], v[16:17], s[26:27], v[18:19]
	v_add_f64 v[94:95], v[106:107], v[104:105]
	v_add_f64 v[14:15], v[14:15], v[22:23]
	v_mul_f64 v[22:23], v[58:59], s[26:27]
	v_add_f64 v[18:19], v[62:63], v[26:27]
	v_add_f64 v[26:27], v[66:67], v[34:35]
	v_fma_f64 v[62:63], v[8:9], s[48:49], v[82:83]
	v_fma_f64 v[34:35], v[80:81], s[46:47], v[12:13]
	v_add_f64 v[66:67], v[100:101], v[78:79]
	v_add_f64 v[78:79], v[102:103], v[86:87]
	;; [unrolled: 1-line block ×3, first 2 shown]
	v_mul_f64 v[24:25], v[10:11], s[24:25]
	v_fma_f64 v[86:87], v[80:81], s[24:25], v[22:23]
	v_fma_f64 v[22:23], v[80:81], s[24:25], -v[22:23]
	v_fma_f64 v[12:13], v[80:81], s[46:47], -v[12:13]
	v_add_f64 v[34:35], v[34:35], v[56:57]
	v_add_f64 v[56:57], v[62:63], v[60:61]
	v_fma_f64 v[60:61], v[8:9], s[44:45], v[82:83]
	v_mul_f64 v[62:63], v[58:59], s[4:5]
	v_mul_f64 v[82:83], v[10:11], s[12:13]
	v_fma_f64 v[88:89], v[8:9], s[22:23], v[24:25]
	v_fma_f64 v[24:25], v[8:9], s[26:27], v[24:25]
	v_add_f64 v[22:23], v[22:23], v[30:31]
	v_mul_f64 v[30:31], v[58:59], s[42:43]
	v_add_f64 v[12:13], v[12:13], v[20:21]
	v_add_f64 v[20:21], v[60:61], v[28:29]
	v_fma_f64 v[28:29], v[80:81], s[12:13], v[62:63]
	v_fma_f64 v[60:61], v[8:9], s[18:19], v[82:83]
	v_add_f64 v[46:47], v[86:87], v[46:47]
	v_add_f64 v[24:25], v[24:25], v[32:33]
	v_mul_f64 v[32:33], v[10:11], s[40:41]
	v_fma_f64 v[86:87], v[80:81], s[40:41], v[30:31]
	v_fma_f64 v[30:31], v[80:81], s[40:41], -v[30:31]
	v_add_f64 v[48:49], v[88:89], v[48:49]
	v_add_f64 v[28:29], v[28:29], v[36:37]
	;; [unrolled: 1-line block ×3, first 2 shown]
	v_fma_f64 v[54:55], v[80:81], s[12:13], -v[62:63]
	v_fma_f64 v[60:61], v[8:9], s[4:5], v[82:83]
	v_mul_f64 v[62:63], v[58:59], s[16:17]
	v_mul_f64 v[82:83], v[10:11], s[6:7]
	v_fma_f64 v[88:89], v[8:9], s[38:39], v[32:33]
	v_fma_f64 v[32:33], v[8:9], s[42:43], v[32:33]
	v_add_f64 v[30:31], v[30:31], v[38:39]
	v_mul_f64 v[38:39], v[58:59], s[50:51]
	v_add_f64 v[54:55], v[54:55], v[64:65]
	v_add_f64 v[60:61], v[60:61], v[72:73]
	v_fma_f64 v[64:65], v[80:81], s[6:7], v[62:63]
	v_fma_f64 v[72:73], v[8:9], s[14:15], v[82:83]
	v_add_f64 v[86:87], v[86:87], v[96:97]
	v_add_f64 v[32:33], v[32:33], v[40:41]
	v_mul_f64 v[40:41], v[10:11], s[52:53]
	v_fma_f64 v[96:97], v[80:81], s[52:53], v[38:39]
	v_fma_f64 v[38:39], v[80:81], s[52:53], -v[38:39]
	v_add_f64 v[88:89], v[88:89], v[98:99]
	v_add_f64 v[64:65], v[64:65], v[74:75]
	;; [unrolled: 1-line block ×3, first 2 shown]
	v_fma_f64 v[62:63], v[80:81], s[6:7], -v[62:63]
	v_fma_f64 v[74:75], v[8:9], s[16:17], v[82:83]
	v_mul_f64 v[76:77], v[58:59], s[30:31]
	v_mul_f64 v[82:83], v[10:11], s[20:21]
	v_fma_f64 v[98:99], v[8:9], s[54:55], v[40:41]
	v_fma_f64 v[40:41], v[8:9], s[50:51], v[40:41]
	v_add_f64 v[92:93], v[96:97], v[92:93]
	v_add_f64 v[96:97], v[38:39], v[42:43]
	v_mul_f64 v[38:39], v[58:59], s[28:29]
	v_add_f64 v[58:59], v[2:3], v[6:7]
	v_add_f64 v[62:63], v[62:63], v[84:85]
	;; [unrolled: 1-line block ×3, first 2 shown]
	v_fma_f64 v[84:85], v[80:81], s[20:21], v[76:77]
	v_fma_f64 v[90:91], v[8:9], s[0:1], v[82:83]
	v_add_f64 v[94:95], v[98:99], v[94:95]
	v_add_f64 v[98:99], v[40:41], v[44:45]
	v_mul_f64 v[10:11], v[10:11], s[34:35]
	v_add_f64 v[44:45], v[2:3], -v[6:7]
	v_fma_f64 v[2:3], v[80:81], s[20:21], -v[76:77]
	v_fma_f64 v[6:7], v[8:9], s[30:31], v[82:83]
	v_fma_f64 v[40:41], v[80:81], s[34:35], v[38:39]
	v_add_f64 v[76:77], v[0:1], v[4:5]
	v_add_f64 v[82:83], v[0:1], -v[4:5]
	v_mul_f64 v[4:5], v[58:59], s[52:53]
	v_add_f64 v[52:53], v[90:91], v[52:53]
	v_mul_f64 v[0:1], v[44:45], s[50:51]
	v_add_f64 v[50:51], v[84:85], v[50:51]
	v_add_f64 v[90:91], v[6:7], v[26:27]
	;; [unrolled: 1-line block ×3, first 2 shown]
	v_fma_f64 v[6:7], v[8:9], s[28:29], v[10:11]
	v_fma_f64 v[42:43], v[8:9], s[36:37], v[10:11]
	;; [unrolled: 1-line block ×3, first 2 shown]
	v_add_f64 v[84:85], v[2:3], v[18:19]
	v_fma_f64 v[2:3], v[80:81], s[34:35], -v[38:39]
	v_fma_f64 v[8:9], v[76:77], s[52:53], v[0:1]
	v_fma_f64 v[10:11], v[82:83], s[54:55], v[4:5]
	v_mul_f64 v[18:19], v[44:45], s[14:15]
	v_mul_f64 v[26:27], v[58:59], s[6:7]
	v_fma_f64 v[38:39], v[76:77], s[52:53], -v[0:1]
	v_add_f64 v[100:101], v[6:7], v[16:17]
	v_add_f64 v[6:7], v[40:41], v[20:21]
	v_mul_f64 v[16:17], v[44:45], s[44:45]
	v_mul_f64 v[20:21], v[58:59], s[46:47]
	v_add_f64 v[80:81], v[2:3], v[14:15]
	v_add_f64 v[0:1], v[8:9], v[34:35]
	;; [unrolled: 1-line block ×3, first 2 shown]
	v_fma_f64 v[8:9], v[76:77], s[6:7], v[18:19]
	v_fma_f64 v[10:11], v[82:83], s[16:17], v[26:27]
	v_add_f64 v[4:5], v[38:39], v[12:13]
	v_fma_f64 v[12:13], v[76:77], s[6:7], -v[18:19]
	v_fma_f64 v[14:15], v[82:83], s[14:15], v[26:27]
	v_mul_f64 v[34:35], v[44:45], s[30:31]
	v_mul_f64 v[38:39], v[58:59], s[20:21]
	v_fma_f64 v[18:19], v[76:77], s[46:47], v[16:17]
	v_fma_f64 v[26:27], v[82:83], s[48:49], v[20:21]
	v_add_f64 v[78:79], v[42:43], v[78:79]
	v_add_f64 v[8:9], v[8:9], v[46:47]
	;; [unrolled: 1-line block ×4, first 2 shown]
	v_fma_f64 v[22:23], v[76:77], s[46:47], -v[16:17]
	v_fma_f64 v[24:25], v[82:83], s[44:45], v[20:21]
	v_fma_f64 v[40:41], v[76:77], s[20:21], v[34:35]
	;; [unrolled: 1-line block ×3, first 2 shown]
	v_add_f64 v[16:17], v[18:19], v[28:29]
	v_add_f64 v[18:19], v[26:27], v[36:37]
	v_mul_f64 v[28:29], v[44:45], s[38:39]
	v_mul_f64 v[36:37], v[58:59], s[40:41]
	v_add_f64 v[10:11], v[10:11], v[48:49]
	v_add_f64 v[20:21], v[22:23], v[54:55]
	;; [unrolled: 1-line block ×5, first 2 shown]
	v_fma_f64 v[34:35], v[76:77], s[20:21], -v[34:35]
	v_fma_f64 v[38:39], v[82:83], s[30:31], v[38:39]
	v_fma_f64 v[40:41], v[76:77], s[40:41], v[28:29]
	;; [unrolled: 1-line block ×3, first 2 shown]
	v_mul_f64 v[46:47], v[44:45], s[26:27]
	v_mul_f64 v[48:49], v[58:59], s[24:25]
	v_fma_f64 v[54:55], v[76:77], s[40:41], -v[28:29]
	v_fma_f64 v[56:57], v[82:83], s[38:39], v[36:37]
	v_add_f64 v[28:29], v[34:35], v[30:31]
	v_add_f64 v[30:31], v[38:39], v[32:33]
	;; [unrolled: 1-line block ×4, first 2 shown]
	v_fma_f64 v[40:41], v[76:77], s[24:25], v[46:47]
	v_fma_f64 v[42:43], v[82:83], s[22:23], v[48:49]
	v_add_f64 v[36:37], v[54:55], v[62:63]
	v_add_f64 v[38:39], v[56:57], v[74:75]
	v_fma_f64 v[46:47], v[76:77], s[24:25], -v[46:47]
	v_fma_f64 v[48:49], v[82:83], s[26:27], v[48:49]
	v_mul_f64 v[54:55], v[44:45], s[28:29]
	v_mul_f64 v[56:57], v[58:59], s[34:35]
	;; [unrolled: 1-line block ×4, first 2 shown]
	v_add_f64 v[40:41], v[40:41], v[92:93]
	v_add_f64 v[42:43], v[42:43], v[94:95]
	v_add_f64 v[44:45], v[46:47], v[96:97]
	v_add_f64 v[46:47], v[48:49], v[98:99]
	v_fma_f64 v[48:49], v[76:77], s[34:35], v[54:55]
	v_fma_f64 v[62:63], v[82:83], s[36:37], v[56:57]
	v_fma_f64 v[54:55], v[76:77], s[34:35], -v[54:55]
	v_fma_f64 v[56:57], v[82:83], s[28:29], v[56:57]
	v_fma_f64 v[64:65], v[76:77], s[12:13], v[60:61]
	;; [unrolled: 1-line block ×3, first 2 shown]
	v_fma_f64 v[60:61], v[76:77], s[12:13], -v[60:61]
	v_fma_f64 v[74:75], v[82:83], s[18:19], v[58:59]
	v_add_f64 v[48:49], v[48:49], v[50:51]
	v_add_f64 v[50:51], v[62:63], v[52:53]
	;; [unrolled: 1-line block ×8, first 2 shown]
	ds_write_b128 v212, v[68:71]
	ds_write_b128 v212, v[0:3] offset:1904
	ds_write_b128 v212, v[8:11] offset:3808
	;; [unrolled: 1-line block ×16, first 2 shown]
	s_waitcnt lgkmcnt(0)
	s_barrier
	ds_read_b128 v[0:3], v212
	buffer_load_dword v4, off, s[60:63], 0 offset:64 ; 4-byte Folded Reload
	buffer_load_dword v5, off, s[60:63], 0 offset:68 ; 4-byte Folded Reload
	s_waitcnt vmcnt(1)
	v_mov_b32_e32 v14, v4
	s_waitcnt vmcnt(0)
	ds_read_b128 v[4:7], v212 offset:1904
	buffer_load_dword v18, off, s[60:63], 0 offset:76 ; 4-byte Folded Reload
	buffer_load_dword v19, off, s[60:63], 0 offset:80 ; 4-byte Folded Reload
	;; [unrolled: 1-line block ×5, first 2 shown]
	v_mad_u64_u32 v[8:9], s[0:1], s10, v14, 0
	s_waitcnt vmcnt(1) lgkmcnt(1)
	v_mul_f64 v[10:11], v[20:21], v[2:3]
	v_mul_f64 v[12:13], v[20:21], v[0:1]
	v_fma_f64 v[0:1], v[18:19], v[0:1], v[10:11]
	v_fma_f64 v[2:3], v[18:19], v[2:3], -v[12:13]
	buffer_load_dword v19, off, s[60:63], 0 offset:332 ; 4-byte Folded Reload
	buffer_load_dword v20, off, s[60:63], 0 offset:336 ; 4-byte Folded Reload
	;; [unrolled: 1-line block ×4, first 2 shown]
	v_mad_u64_u32 v[14:15], s[0:1], s11, v14, v[9:10]
	s_waitcnt vmcnt(4)
	v_mad_u64_u32 v[15:16], s[0:1], s8, v17, 0
	v_mov_b32_e32 v9, v14
	v_lshlrev_b64 v[8:9], 4, v[8:9]
	v_mov_b32_e32 v10, v16
	v_mad_u64_u32 v[10:11], s[0:1], s9, v17, v[10:11]
	s_mov_b32 s0, 0x2e50bc4c
	s_mov_b32 s1, 0x3f40329e
	v_mov_b32_e32 v16, v10
	v_mul_f64 v[0:1], v[0:1], s[0:1]
	v_mul_f64 v[2:3], v[2:3], s[0:1]
	v_mov_b32_e32 v14, s3
	v_add_co_u32_e32 v17, vcc, s2, v8
	v_addc_co_u32_e32 v18, vcc, v14, v9, vcc
	v_lshlrev_b64 v[8:9], 4, v[15:16]
	s_mul_i32 s2, s9, 0x770
	v_add_co_u32_e32 v14, vcc, v17, v8
	v_addc_co_u32_e32 v15, vcc, v18, v9, vcc
	global_store_dwordx4 v[14:15], v[0:3], off
	s_mul_hi_u32 s3, s8, 0x770
	s_add_i32 s2, s3, s2
	s_mul_i32 s3, s8, 0x770
	v_add_co_u32_e32 v14, vcc, s3, v14
	s_waitcnt vmcnt(1) lgkmcnt(0)
	v_mul_f64 v[10:11], v[21:22], v[6:7]
	v_mul_f64 v[12:13], v[21:22], v[4:5]
	v_fma_f64 v[10:11], v[19:20], v[4:5], v[10:11]
	v_fma_f64 v[12:13], v[19:20], v[6:7], -v[12:13]
	ds_read_b128 v[4:7], v212 offset:3808
	v_mov_b32_e32 v20, s2
	v_addc_co_u32_e32 v15, vcc, v15, v20, vcc
	v_mul_f64 v[0:1], v[10:11], s[0:1]
	ds_read_b128 v[8:11], v212 offset:5712
	buffer_load_dword v21, off, s[60:63], 0 offset:316 ; 4-byte Folded Reload
	buffer_load_dword v22, off, s[60:63], 0 offset:320 ; 4-byte Folded Reload
	;; [unrolled: 1-line block ×4, first 2 shown]
	v_mul_f64 v[2:3], v[12:13], s[0:1]
	s_waitcnt vmcnt(0) lgkmcnt(1)
	v_mul_f64 v[16:17], v[23:24], v[6:7]
	v_mul_f64 v[18:19], v[23:24], v[4:5]
	buffer_load_dword v23, off, s[60:63], 0 offset:300 ; 4-byte Folded Reload
	buffer_load_dword v24, off, s[60:63], 0 offset:304 ; 4-byte Folded Reload
	;; [unrolled: 1-line block ×4, first 2 shown]
	v_fma_f64 v[4:5], v[21:22], v[4:5], v[16:17]
	v_fma_f64 v[6:7], v[21:22], v[6:7], -v[18:19]
	global_store_dwordx4 v[14:15], v[0:3], off
	v_mov_b32_e32 v22, s2
	v_add_co_u32_e32 v14, vcc, s3, v14
	v_addc_co_u32_e32 v15, vcc, v15, v22, vcc
	v_mul_f64 v[0:1], v[4:5], s[0:1]
	v_mul_f64 v[2:3], v[6:7], s[0:1]
	ds_read_b128 v[4:7], v212 offset:7616
	s_waitcnt vmcnt(1) lgkmcnt(1)
	v_mul_f64 v[12:13], v[25:26], v[10:11]
	v_mul_f64 v[16:17], v[25:26], v[8:9]
	v_fma_f64 v[12:13], v[23:24], v[8:9], v[12:13]
	v_fma_f64 v[16:17], v[23:24], v[10:11], -v[16:17]
	ds_read_b128 v[8:11], v212 offset:9520
	buffer_load_dword v23, off, s[60:63], 0 offset:284 ; 4-byte Folded Reload
	buffer_load_dword v24, off, s[60:63], 0 offset:288 ; 4-byte Folded Reload
	;; [unrolled: 1-line block ×4, first 2 shown]
	s_waitcnt vmcnt(0) lgkmcnt(1)
	v_mul_f64 v[18:19], v[25:26], v[6:7]
	v_mul_f64 v[20:21], v[25:26], v[4:5]
	global_store_dwordx4 v[14:15], v[0:3], off
	v_add_co_u32_e32 v14, vcc, s3, v14
	v_mul_f64 v[0:1], v[12:13], s[0:1]
	v_mul_f64 v[2:3], v[16:17], s[0:1]
	v_addc_co_u32_e32 v15, vcc, v15, v22, vcc
	v_fma_f64 v[4:5], v[23:24], v[4:5], v[18:19]
	v_fma_f64 v[6:7], v[23:24], v[6:7], -v[20:21]
	buffer_load_dword v18, off, s[60:63], 0 offset:188 ; 4-byte Folded Reload
	buffer_load_dword v19, off, s[60:63], 0 offset:192 ; 4-byte Folded Reload
	buffer_load_dword v20, off, s[60:63], 0 offset:196 ; 4-byte Folded Reload
	buffer_load_dword v21, off, s[60:63], 0 offset:200 ; 4-byte Folded Reload
	s_waitcnt vmcnt(0) lgkmcnt(0)
	v_mul_f64 v[12:13], v[20:21], v[10:11]
	v_mul_f64 v[16:17], v[20:21], v[8:9]
	global_store_dwordx4 v[14:15], v[0:3], off
	v_add_co_u32_e32 v14, vcc, s3, v14
	v_mul_f64 v[0:1], v[4:5], s[0:1]
	v_mul_f64 v[2:3], v[6:7], s[0:1]
	ds_read_b128 v[4:7], v212 offset:11424
	v_fma_f64 v[12:13], v[18:19], v[8:9], v[12:13]
	v_fma_f64 v[16:17], v[18:19], v[10:11], -v[16:17]
	ds_read_b128 v[8:11], v212 offset:13328
	buffer_load_dword v23, off, s[60:63], 0 offset:92 ; 4-byte Folded Reload
	buffer_load_dword v24, off, s[60:63], 0 offset:96 ; 4-byte Folded Reload
	buffer_load_dword v25, off, s[60:63], 0 offset:100 ; 4-byte Folded Reload
	buffer_load_dword v26, off, s[60:63], 0 offset:104 ; 4-byte Folded Reload
	v_addc_co_u32_e32 v15, vcc, v15, v22, vcc
	global_store_dwordx4 v[14:15], v[0:3], off
	v_add_co_u32_e32 v14, vcc, s3, v14
	v_mul_f64 v[0:1], v[12:13], s[0:1]
	v_mul_f64 v[2:3], v[16:17], s[0:1]
	v_addc_co_u32_e32 v15, vcc, v15, v22, vcc
	s_waitcnt vmcnt(1) lgkmcnt(1)
	v_mul_f64 v[18:19], v[25:26], v[6:7]
	v_mul_f64 v[20:21], v[25:26], v[4:5]
	v_fma_f64 v[4:5], v[23:24], v[4:5], v[18:19]
	v_fma_f64 v[6:7], v[23:24], v[6:7], -v[20:21]
	buffer_load_dword v18, off, s[60:63], 0 offset:220 ; 4-byte Folded Reload
	buffer_load_dword v19, off, s[60:63], 0 offset:224 ; 4-byte Folded Reload
	buffer_load_dword v20, off, s[60:63], 0 offset:228 ; 4-byte Folded Reload
	buffer_load_dword v21, off, s[60:63], 0 offset:232 ; 4-byte Folded Reload
	s_waitcnt vmcnt(0) lgkmcnt(0)
	v_mul_f64 v[12:13], v[20:21], v[10:11]
	v_mul_f64 v[16:17], v[20:21], v[8:9]
	global_store_dwordx4 v[14:15], v[0:3], off
	v_add_co_u32_e32 v14, vcc, s3, v14
	v_mul_f64 v[0:1], v[4:5], s[0:1]
	v_mul_f64 v[2:3], v[6:7], s[0:1]
	ds_read_b128 v[4:7], v212 offset:15232
	v_fma_f64 v[12:13], v[18:19], v[8:9], v[12:13]
	v_fma_f64 v[16:17], v[18:19], v[10:11], -v[16:17]
	ds_read_b128 v[8:11], v212 offset:17136
	buffer_load_dword v23, off, s[60:63], 0 offset:124 ; 4-byte Folded Reload
	buffer_load_dword v24, off, s[60:63], 0 offset:128 ; 4-byte Folded Reload
	buffer_load_dword v25, off, s[60:63], 0 offset:132 ; 4-byte Folded Reload
	buffer_load_dword v26, off, s[60:63], 0 offset:136 ; 4-byte Folded Reload
	v_addc_co_u32_e32 v15, vcc, v15, v22, vcc
	global_store_dwordx4 v[14:15], v[0:3], off
	v_add_co_u32_e32 v14, vcc, s3, v14
	v_mul_f64 v[0:1], v[12:13], s[0:1]
	v_mul_f64 v[2:3], v[16:17], s[0:1]
	v_addc_co_u32_e32 v15, vcc, v15, v22, vcc
	s_waitcnt vmcnt(1) lgkmcnt(1)
	v_mul_f64 v[18:19], v[25:26], v[6:7]
	v_mul_f64 v[20:21], v[25:26], v[4:5]
	;; [unrolled: 30-line block ×5, first 2 shown]
	v_fma_f64 v[12:13], v[23:24], v[4:5], v[18:19]
	v_fma_f64 v[16:17], v[23:24], v[6:7], -v[20:21]
	ds_read_b128 v[4:7], v212 offset:30464
	buffer_load_dword v26, off, s[60:63], 0 offset:108 ; 4-byte Folded Reload
	buffer_load_dword v27, off, s[60:63], 0 offset:112 ; 4-byte Folded Reload
	buffer_load_dword v28, off, s[60:63], 0 offset:116 ; 4-byte Folded Reload
	buffer_load_dword v29, off, s[60:63], 0 offset:120 ; 4-byte Folded Reload
	s_waitcnt vmcnt(0) lgkmcnt(1)
	v_mul_f64 v[18:19], v[28:29], v[10:11]
	v_mul_f64 v[20:21], v[28:29], v[8:9]
	buffer_load_dword v28, off, s[60:63], 0 offset:204 ; 4-byte Folded Reload
	buffer_load_dword v29, off, s[60:63], 0 offset:208 ; 4-byte Folded Reload
	;; [unrolled: 1-line block ×4, first 2 shown]
	v_fma_f64 v[8:9], v[26:27], v[8:9], v[18:19]
	global_store_dwordx4 v[14:15], v[0:3], off
	v_fma_f64 v[10:11], v[26:27], v[10:11], -v[20:21]
	v_mul_f64 v[0:1], v[12:13], s[0:1]
	v_mul_f64 v[2:3], v[16:17], s[0:1]
	v_mov_b32_e32 v13, s2
	v_add_co_u32_e32 v12, vcc, s3, v14
	v_addc_co_u32_e32 v13, vcc, v15, v13, vcc
	global_store_dwordx4 v[12:13], v[0:3], off
	s_nop 0
	v_mul_f64 v[0:1], v[8:9], s[0:1]
	v_mul_f64 v[2:3], v[10:11], s[0:1]
	v_mov_b32_e32 v9, s2
	v_add_co_u32_e32 v8, vcc, s3, v12
	v_addc_co_u32_e32 v9, vcc, v13, v9, vcc
	global_store_dwordx4 v[8:9], v[0:3], off
	s_nop 0
	v_mov_b32_e32 v1, s2
	v_add_co_u32_e32 v0, vcc, s3, v8
	v_addc_co_u32_e32 v1, vcc, v9, v1, vcc
	s_waitcnt vmcnt(3) lgkmcnt(0)
	v_mul_f64 v[22:23], v[30:31], v[6:7]
	v_mul_f64 v[24:25], v[30:31], v[4:5]
	v_fma_f64 v[4:5], v[28:29], v[4:5], v[22:23]
	v_fma_f64 v[6:7], v[28:29], v[6:7], -v[24:25]
	v_mul_f64 v[4:5], v[4:5], s[0:1]
	v_mul_f64 v[6:7], v[6:7], s[0:1]
	global_store_dwordx4 v[0:1], v[4:7], off
.LBB0_10:
	s_endpgm
	.section	.rodata,"a",@progbits
	.p2align	6, 0x0
	.amdhsa_kernel bluestein_single_fwd_len2023_dim1_dp_op_CI_CI
		.amdhsa_group_segment_fixed_size 32368
		.amdhsa_private_segment_fixed_size 440
		.amdhsa_kernarg_size 104
		.amdhsa_user_sgpr_count 6
		.amdhsa_user_sgpr_private_segment_buffer 1
		.amdhsa_user_sgpr_dispatch_ptr 0
		.amdhsa_user_sgpr_queue_ptr 0
		.amdhsa_user_sgpr_kernarg_segment_ptr 1
		.amdhsa_user_sgpr_dispatch_id 0
		.amdhsa_user_sgpr_flat_scratch_init 0
		.amdhsa_user_sgpr_private_segment_size 0
		.amdhsa_uses_dynamic_stack 0
		.amdhsa_system_sgpr_private_segment_wavefront_offset 1
		.amdhsa_system_sgpr_workgroup_id_x 1
		.amdhsa_system_sgpr_workgroup_id_y 0
		.amdhsa_system_sgpr_workgroup_id_z 0
		.amdhsa_system_sgpr_workgroup_info 0
		.amdhsa_system_vgpr_workitem_id 0
		.amdhsa_next_free_vgpr 256
		.amdhsa_next_free_sgpr 64
		.amdhsa_reserve_vcc 1
		.amdhsa_reserve_flat_scratch 0
		.amdhsa_float_round_mode_32 0
		.amdhsa_float_round_mode_16_64 0
		.amdhsa_float_denorm_mode_32 3
		.amdhsa_float_denorm_mode_16_64 3
		.amdhsa_dx10_clamp 1
		.amdhsa_ieee_mode 1
		.amdhsa_fp16_overflow 0
		.amdhsa_exception_fp_ieee_invalid_op 0
		.amdhsa_exception_fp_denorm_src 0
		.amdhsa_exception_fp_ieee_div_zero 0
		.amdhsa_exception_fp_ieee_overflow 0
		.amdhsa_exception_fp_ieee_underflow 0
		.amdhsa_exception_fp_ieee_inexact 0
		.amdhsa_exception_int_div_zero 0
	.end_amdhsa_kernel
	.text
.Lfunc_end0:
	.size	bluestein_single_fwd_len2023_dim1_dp_op_CI_CI, .Lfunc_end0-bluestein_single_fwd_len2023_dim1_dp_op_CI_CI
                                        ; -- End function
	.section	.AMDGPU.csdata,"",@progbits
; Kernel info:
; codeLenInByte = 39044
; NumSgprs: 68
; NumVgprs: 256
; ScratchSize: 440
; MemoryBound: 0
; FloatMode: 240
; IeeeMode: 1
; LDSByteSize: 32368 bytes/workgroup (compile time only)
; SGPRBlocks: 8
; VGPRBlocks: 63
; NumSGPRsForWavesPerEU: 68
; NumVGPRsForWavesPerEU: 256
; Occupancy: 1
; WaveLimiterHint : 1
; COMPUTE_PGM_RSRC2:SCRATCH_EN: 1
; COMPUTE_PGM_RSRC2:USER_SGPR: 6
; COMPUTE_PGM_RSRC2:TRAP_HANDLER: 0
; COMPUTE_PGM_RSRC2:TGID_X_EN: 1
; COMPUTE_PGM_RSRC2:TGID_Y_EN: 0
; COMPUTE_PGM_RSRC2:TGID_Z_EN: 0
; COMPUTE_PGM_RSRC2:TIDIG_COMP_CNT: 0
	.type	__hip_cuid_4f713db85e0161a3,@object ; @__hip_cuid_4f713db85e0161a3
	.section	.bss,"aw",@nobits
	.globl	__hip_cuid_4f713db85e0161a3
__hip_cuid_4f713db85e0161a3:
	.byte	0                               ; 0x0
	.size	__hip_cuid_4f713db85e0161a3, 1

	.ident	"AMD clang version 19.0.0git (https://github.com/RadeonOpenCompute/llvm-project roc-6.4.0 25133 c7fe45cf4b819c5991fe208aaa96edf142730f1d)"
	.section	".note.GNU-stack","",@progbits
	.addrsig
	.addrsig_sym __hip_cuid_4f713db85e0161a3
	.amdgpu_metadata
---
amdhsa.kernels:
  - .args:
      - .actual_access:  read_only
        .address_space:  global
        .offset:         0
        .size:           8
        .value_kind:     global_buffer
      - .actual_access:  read_only
        .address_space:  global
        .offset:         8
        .size:           8
        .value_kind:     global_buffer
      - .actual_access:  read_only
        .address_space:  global
        .offset:         16
        .size:           8
        .value_kind:     global_buffer
      - .actual_access:  read_only
        .address_space:  global
        .offset:         24
        .size:           8
        .value_kind:     global_buffer
      - .actual_access:  read_only
        .address_space:  global
        .offset:         32
        .size:           8
        .value_kind:     global_buffer
      - .offset:         40
        .size:           8
        .value_kind:     by_value
      - .address_space:  global
        .offset:         48
        .size:           8
        .value_kind:     global_buffer
      - .address_space:  global
        .offset:         56
        .size:           8
        .value_kind:     global_buffer
      - .address_space:  global
        .offset:         64
        .size:           8
        .value_kind:     global_buffer
      - .address_space:  global
        .offset:         72
        .size:           8
        .value_kind:     global_buffer
      - .offset:         80
        .size:           4
        .value_kind:     by_value
      - .address_space:  global
        .offset:         88
        .size:           8
        .value_kind:     global_buffer
      - .address_space:  global
        .offset:         96
        .size:           8
        .value_kind:     global_buffer
    .group_segment_fixed_size: 32368
    .kernarg_segment_align: 8
    .kernarg_segment_size: 104
    .language:       OpenCL C
    .language_version:
      - 2
      - 0
    .max_flat_workgroup_size: 119
    .name:           bluestein_single_fwd_len2023_dim1_dp_op_CI_CI
    .private_segment_fixed_size: 440
    .sgpr_count:     68
    .sgpr_spill_count: 0
    .symbol:         bluestein_single_fwd_len2023_dim1_dp_op_CI_CI.kd
    .uniform_work_group_size: 1
    .uses_dynamic_stack: false
    .vgpr_count:     256
    .vgpr_spill_count: 127
    .wavefront_size: 64
amdhsa.target:   amdgcn-amd-amdhsa--gfx906
amdhsa.version:
  - 1
  - 2
...

	.end_amdgpu_metadata
